;; amdgpu-corpus repo=ROCm/rocFFT kind=compiled arch=gfx1030 opt=O3
	.text
	.amdgcn_target "amdgcn-amd-amdhsa--gfx1030"
	.amdhsa_code_object_version 6
	.protected	bluestein_single_fwd_len1200_dim1_half_op_CI_CI ; -- Begin function bluestein_single_fwd_len1200_dim1_half_op_CI_CI
	.globl	bluestein_single_fwd_len1200_dim1_half_op_CI_CI
	.p2align	8
	.type	bluestein_single_fwd_len1200_dim1_half_op_CI_CI,@function
bluestein_single_fwd_len1200_dim1_half_op_CI_CI: ; @bluestein_single_fwd_len1200_dim1_half_op_CI_CI
; %bb.0:
	s_load_dwordx4 s[8:11], s[4:5], 0x28
	v_mul_u32_u24_e32 v1, 0x36a, v0
	s_mov_b32 s0, exec_lo
	v_lshrrev_b32_e32 v1, 16, v1
	v_mad_u64_u32 v[37:38], null, s6, 3, v[1:2]
	v_mov_b32_e32 v38, 0
	s_waitcnt lgkmcnt(0)
	v_cmpx_gt_u64_e64 s[8:9], v[37:38]
	s_cbranch_execz .LBB0_31
; %bb.1:
	s_clause 0x1
	s_load_dwordx4 s[0:3], s[4:5], 0x18
	s_load_dwordx2 s[6:7], s[4:5], 0x0
	v_mul_lo_u16 v1, 0x4b, v1
	v_sub_nc_u16 v7, v0, v1
	v_and_b32_e32 v84, 0xffff, v7
	v_lshlrev_b32_e32 v8, 2, v84
	s_waitcnt lgkmcnt(0)
	s_load_dwordx4 s[12:15], s[0:1], 0x0
	v_add_co_u32 v35, s0, s6, v8
	v_add_co_ci_u32_e64 v36, null, s7, 0, s0
	global_load_dword v85, v8, s[6:7] offset:1920
	v_add_co_u32 v31, vcc_lo, 0x800, v35
	v_add_co_ci_u32_e32 v32, vcc_lo, 0, v36, vcc_lo
	s_clause 0x4
	global_load_dword v86, v8, s[6:7]
	global_load_dword v81, v8, s[6:7] offset:300
	global_load_dword v87, v8, s[6:7] offset:960
	;; [unrolled: 1-line block ×3, first 2 shown]
	global_load_dword v83, v[31:32], off offset:832
	s_waitcnt lgkmcnt(0)
	v_mad_u64_u32 v[0:1], null, s14, v37, 0
	v_mad_u64_u32 v[2:3], null, s12, v84, 0
	s_mul_i32 s1, s13, 0xf0
	s_mul_hi_u32 s8, s12, 0xf0
	s_mul_i32 s0, s12, 0xf0
	s_add_i32 s1, s8, s1
	s_mul_i32 s9, s13, 0xfffffc8b
	v_mad_u64_u32 v[4:5], null, s15, v37, v[1:2]
	s_lshl_b64 s[14:15], s[0:1], 2
	s_mul_i32 s0, s12, 0xfffffc8b
	v_mad_u64_u32 v[5:6], null, s13, v84, v[3:4]
	v_mov_b32_e32 v1, v4
	s_mul_hi_u32 s13, s12, 0xfffffc8b
	s_sub_i32 s1, s13, s12
	v_lshlrev_b64 v[0:1], 2, v[0:1]
	v_mov_b32_e32 v3, v5
	s_add_i32 s1, s1, s9
	s_lshl_b64 s[0:1], s[0:1], 2
	v_lshlrev_b64 v[2:3], 2, v[2:3]
	v_add_co_u32 v0, vcc_lo, s10, v0
	v_add_co_ci_u32_e32 v1, vcc_lo, s11, v1, vcc_lo
	v_add_co_u32 v0, vcc_lo, v0, v2
	v_add_co_ci_u32_e32 v1, vcc_lo, v1, v3, vcc_lo
	;; [unrolled: 2-line block ×3, first 2 shown]
	s_clause 0x1
	global_load_dword v6, v[0:1], off
	global_load_dword v9, v[2:3], off
	v_add_co_u32 v0, vcc_lo, v2, s14
	v_add_co_ci_u32_e32 v1, vcc_lo, s15, v3, vcc_lo
	v_add_co_u32 v2, vcc_lo, v0, s14
	v_add_co_ci_u32_e32 v3, vcc_lo, s15, v1, vcc_lo
	s_clause 0x1
	global_load_dword v10, v[0:1], off
	global_load_dword v11, v[2:3], off
	v_add_co_u32 v0, vcc_lo, v2, s14
	v_add_co_ci_u32_e32 v1, vcc_lo, s15, v3, vcc_lo
	v_add_co_u32 v2, vcc_lo, v0, s0
	v_add_co_ci_u32_e32 v3, vcc_lo, s1, v1, vcc_lo
	s_clause 0x2
	global_load_dword v75, v8, s[6:7] offset:1560
	global_load_dword v76, v8, s[6:7] offset:600
	global_load_dword v82, v[31:32], off offset:1792
	global_load_dword v12, v[0:1], off
	global_load_dword v13, v[2:3], off
	v_add_co_u32 v0, vcc_lo, v2, s14
	v_add_co_ci_u32_e32 v1, vcc_lo, s15, v3, vcc_lo
	v_add_co_u32 v33, vcc_lo, 0x1000, v35
	v_add_co_ci_u32_e32 v34, vcc_lo, 0, v36, vcc_lo
	global_load_dword v15, v[0:1], off
	v_add_co_u32 v0, vcc_lo, v0, s14
	v_add_co_ci_u32_e32 v1, vcc_lo, s15, v1, vcc_lo
	global_load_dword v79, v[31:32], off offset:172
	v_add_co_u32 v2, vcc_lo, v0, s14
	v_add_co_ci_u32_e32 v3, vcc_lo, s15, v1, vcc_lo
	global_load_dword v78, v[31:32], off offset:1132
	global_load_dword v16, v[0:1], off
	s_clause 0x1
	global_load_dword v77, v[33:34], off offset:44
	global_load_dword v72, v[33:34], off offset:344
	global_load_dword v17, v[2:3], off
	v_add_co_u32 v0, vcc_lo, v2, s14
	v_add_co_ci_u32_e32 v1, vcc_lo, s15, v3, vcc_lo
	global_load_dword v73, v[31:32], off offset:1432
	v_add_co_u32 v2, vcc_lo, v0, s0
	v_add_co_ci_u32_e32 v3, vcc_lo, s1, v1, vcc_lo
	global_load_dword v18, v[0:1], off
	v_add_co_u32 v0, vcc_lo, v2, s14
	v_add_co_ci_u32_e32 v1, vcc_lo, s15, v3, vcc_lo
	global_load_dword v19, v[2:3], off
	;; [unrolled: 3-line block ×4, first 2 shown]
	v_add_co_u32 v0, vcc_lo, v4, s14
	v_add_co_ci_u32_e32 v1, vcc_lo, s15, v5, vcc_lo
	global_load_dword v74, v[31:32], off offset:472
	global_load_dword v5, v[4:5], off
	global_load_dword v21, v[0:1], off
	v_mul_hi_u32 v2, 0xaaaaaaab, v37
	s_load_dwordx2 s[6:7], s[4:5], 0x38
	s_load_dwordx4 s[8:11], s[2:3], 0x0
	v_cmp_gt_u16_e32 vcc_lo, 15, v7
	v_lshrrev_b32_e32 v2, 1, v2
	v_lshl_add_u32 v2, v2, 1, v2
	v_sub_nc_u32_e32 v2, v37, v2
	v_mul_u32_u24_e32 v2, 0x4b0, v2
	v_lshlrev_b32_e32 v89, 2, v2
	v_add_nc_u32_e32 v71, v8, v89
	v_add_nc_u32_e32 v4, 0x400, v71
	;; [unrolled: 1-line block ×4, first 2 shown]
	s_waitcnt vmcnt(23)
	v_lshrrev_b32_e32 v8, 16, v6
	v_mul_f16_sdwa v22, v86, v6 dst_sel:DWORD dst_unused:UNUSED_PAD src0_sel:WORD_1 src1_sel:DWORD
	s_waitcnt vmcnt(22)
	v_lshrrev_b32_e32 v24, 16, v9
	v_mul_f16_sdwa v25, v87, v9 dst_sel:DWORD dst_unused:UNUSED_PAD src0_sel:WORD_1 src1_sel:DWORD
	v_mul_f16_sdwa v23, v86, v8 dst_sel:DWORD dst_unused:UNUSED_PAD src0_sel:WORD_1 src1_sel:DWORD
	v_fma_f16 v8, v86, v8, -v22
	v_fmac_f16_e32 v23, v86, v6
	v_mul_f16_sdwa v6, v87, v24 dst_sel:DWORD dst_unused:UNUSED_PAD src0_sel:WORD_1 src1_sel:DWORD
	v_fma_f16 v24, v87, v24, -v25
	s_waitcnt vmcnt(21)
	v_lshrrev_b32_e32 v22, 16, v10
	v_mul_f16_sdwa v25, v85, v10 dst_sel:DWORD dst_unused:UNUSED_PAD src0_sel:WORD_1 src1_sel:DWORD
	v_pack_b32_f16 v8, v23, v8
	v_fmac_f16_e32 v6, v87, v9
	s_waitcnt vmcnt(20)
	v_lshrrev_b32_e32 v23, 16, v11
	v_mul_f16_sdwa v9, v85, v22 dst_sel:DWORD dst_unused:UNUSED_PAD src0_sel:WORD_1 src1_sel:DWORD
	v_mul_f16_sdwa v26, v83, v11 dst_sel:DWORD dst_unused:UNUSED_PAD src0_sel:WORD_1 src1_sel:DWORD
	v_fma_f16 v22, v85, v22, -v25
	v_pack_b32_f16 v6, v6, v24
	v_fmac_f16_e32 v9, v85, v10
	v_mul_f16_sdwa v10, v83, v23 dst_sel:DWORD dst_unused:UNUSED_PAD src0_sel:WORD_1 src1_sel:DWORD
	s_waitcnt vmcnt(16)
	v_lshrrev_b32_e32 v24, 16, v12
	v_mul_f16_sdwa v25, v82, v12 dst_sel:DWORD dst_unused:UNUSED_PAD src0_sel:WORD_1 src1_sel:DWORD
	v_fma_f16 v23, v83, v23, -v26
	ds_write_b32 v71, v6 offset:960
	v_pack_b32_f16 v6, v9, v22
	v_fmac_f16_e32 v10, v83, v11
	v_mul_f16_sdwa v9, v82, v24 dst_sel:DWORD dst_unused:UNUSED_PAD src0_sel:WORD_1 src1_sel:DWORD
	v_fma_f16 v11, v82, v24, -v25
	s_waitcnt vmcnt(15)
	v_lshrrev_b32_e32 v22, 16, v13
	v_mul_f16_sdwa v24, v81, v13 dst_sel:DWORD dst_unused:UNUSED_PAD src0_sel:WORD_1 src1_sel:DWORD
	ds_write_b32 v71, v6 offset:1920
	v_pack_b32_f16 v6, v10, v23
	v_fmac_f16_e32 v9, v82, v12
	v_mul_f16_sdwa v10, v81, v22 dst_sel:DWORD dst_unused:UNUSED_PAD src0_sel:WORD_1 src1_sel:DWORD
	v_fma_f16 v12, v81, v22, -v24
	s_waitcnt vmcnt(14)
	v_lshrrev_b32_e32 v22, 16, v15
	v_mul_f16_sdwa v23, v80, v15 dst_sel:DWORD dst_unused:UNUSED_PAD src0_sel:WORD_1 src1_sel:DWORD
	;; [unrolled: 8-line block ×4, first 2 shown]
	ds_write2_b32 v71, v8, v6 offset1:75
	v_pack_b32_f16 v6, v9, v11
	v_fmac_f16_e32 v10, v79, v16
	v_mul_f16_sdwa v8, v78, v13 dst_sel:DWORD dst_unused:UNUSED_PAD src0_sel:WORD_1 src1_sel:DWORD
	s_waitcnt vmcnt(6)
	v_lshrrev_b32_e32 v9, 16, v18
	v_fma_f16 v11, v78, v13, -v15
	v_mul_f16_sdwa v13, v77, v18 dst_sel:DWORD dst_unused:UNUSED_PAD src0_sel:WORD_1 src1_sel:DWORD
	s_waitcnt vmcnt(5)
	v_lshrrev_b32_e32 v15, 16, v19
	v_fmac_f16_e32 v8, v78, v17
	v_pack_b32_f16 v10, v10, v12
	v_mul_f16_sdwa v12, v77, v9 dst_sel:DWORD dst_unused:UNUSED_PAD src0_sel:WORD_1 src1_sel:DWORD
	v_fma_f16 v9, v77, v9, -v13
	v_mul_f16_sdwa v13, v76, v19 dst_sel:DWORD dst_unused:UNUSED_PAD src0_sel:WORD_1 src1_sel:DWORD
	v_pack_b32_f16 v8, v8, v11
	v_mul_f16_sdwa v11, v76, v15 dst_sel:DWORD dst_unused:UNUSED_PAD src0_sel:WORD_1 src1_sel:DWORD
	v_fmac_f16_e32 v12, v77, v18
	s_waitcnt vmcnt(4)
	v_lshrrev_b32_e32 v16, 16, v20
	v_mul_f16_sdwa v17, v75, v20 dst_sel:DWORD dst_unused:UNUSED_PAD src0_sel:WORD_1 src1_sel:DWORD
	v_fma_f16 v13, v76, v15, -v13
	v_fmac_f16_e32 v11, v76, v19
	v_pack_b32_f16 v9, v12, v9
	v_mul_f16_sdwa v12, v75, v16 dst_sel:DWORD dst_unused:UNUSED_PAD src0_sel:WORD_1 src1_sel:DWORD
	v_fma_f16 v15, v75, v16, -v17
	s_waitcnt vmcnt(3)
	v_lshrrev_b32_e32 v16, 16, v3
	s_waitcnt vmcnt(2)
	v_mul_f16_sdwa v17, v74, v3 dst_sel:DWORD dst_unused:UNUSED_PAD src0_sel:WORD_1 src1_sel:DWORD
	v_pack_b32_f16 v11, v11, v13
	s_waitcnt vmcnt(1)
	v_lshrrev_b32_e32 v13, 16, v5
	s_waitcnt vmcnt(0)
	v_lshrrev_b32_e32 v19, 16, v21
	v_mul_f16_sdwa v18, v74, v16 dst_sel:DWORD dst_unused:UNUSED_PAD src0_sel:WORD_1 src1_sel:DWORD
	v_fmac_f16_e32 v12, v75, v20
	v_fma_f16 v16, v74, v16, -v17
	v_mul_f16_sdwa v17, v73, v5 dst_sel:DWORD dst_unused:UNUSED_PAD src0_sel:WORD_1 src1_sel:DWORD
	v_mul_f16_sdwa v20, v73, v13 dst_sel:DWORD dst_unused:UNUSED_PAD src0_sel:WORD_1 src1_sel:DWORD
	;; [unrolled: 1-line block ×4, first 2 shown]
	v_fmac_f16_e32 v18, v74, v3
	v_fma_f16 v3, v73, v13, -v17
	v_fmac_f16_e32 v20, v73, v5
	v_fma_f16 v5, v72, v19, -v22
	v_fmac_f16_e32 v23, v72, v21
	ds_write_b32 v71, v11 offset:600
	v_pack_b32_f16 v11, v12, v15
	v_pack_b32_f16 v12, v18, v16
	;; [unrolled: 1-line block ×4, first 2 shown]
	v_add_nc_u32_e32 v13, 0x1000, v71
	ds_write2_b32 v4, v6, v11 offset0:59 offset1:134
	ds_write2_b32 v2, v10, v12 offset0:43 offset1:118
	;; [unrolled: 1-line block ×4, first 2 shown]
	s_and_saveexec_b32 s2, vcc_lo
	s_cbranch_execz .LBB0_3
; %bb.2:
	v_add_co_u32 v0, s0, v0, s0
	v_add_co_ci_u32_e64 v1, s0, s1, v1, s0
	v_add_co_u32 v5, s0, v0, s14
	v_add_co_ci_u32_e64 v6, s0, s15, v1, s0
	global_load_dword v3, v[0:1], off
	global_load_dword v7, v[5:6], off
	v_add_co_u32 v0, s0, v5, s14
	v_add_co_ci_u32_e64 v1, s0, s15, v6, s0
	s_clause 0x1
	global_load_dword v8, v[35:36], off offset:900
	global_load_dword v9, v[35:36], off offset:1860
	v_add_co_u32 v5, s0, v0, s14
	v_add_co_ci_u32_e64 v6, s0, s15, v1, s0
	global_load_dword v10, v[0:1], off
	v_add_co_u32 v0, s0, v5, s14
	v_add_co_ci_u32_e64 v1, s0, s15, v6, s0
	global_load_dword v11, v[31:32], off offset:772
	global_load_dword v5, v[5:6], off
	global_load_dword v0, v[0:1], off
	s_clause 0x1
	global_load_dword v1, v[31:32], off offset:1732
	global_load_dword v6, v[33:34], off offset:644
	s_waitcnt vmcnt(9)
	v_lshrrev_b32_e32 v12, 16, v3
	s_waitcnt vmcnt(8)
	v_lshrrev_b32_e32 v16, 16, v7
	s_waitcnt vmcnt(7)
	v_mul_f16_sdwa v13, v8, v3 dst_sel:DWORD dst_unused:UNUSED_PAD src0_sel:WORD_1 src1_sel:DWORD
	v_mul_f16_sdwa v15, v8, v12 dst_sel:DWORD dst_unused:UNUSED_PAD src0_sel:WORD_1 src1_sel:DWORD
	s_waitcnt vmcnt(6)
	v_mul_f16_sdwa v17, v9, v7 dst_sel:DWORD dst_unused:UNUSED_PAD src0_sel:WORD_1 src1_sel:DWORD
	v_fma_f16 v12, v8, v12, -v13
	v_fmac_f16_e32 v15, v8, v3
	v_mul_f16_sdwa v3, v9, v16 dst_sel:DWORD dst_unused:UNUSED_PAD src0_sel:WORD_1 src1_sel:DWORD
	s_waitcnt vmcnt(5)
	v_lshrrev_b32_e32 v8, 16, v10
	v_fma_f16 v13, v9, v16, -v17
	s_waitcnt vmcnt(4)
	v_mul_f16_sdwa v16, v11, v10 dst_sel:DWORD dst_unused:UNUSED_PAD src0_sel:WORD_1 src1_sel:DWORD
	v_pack_b32_f16 v12, v15, v12
	v_fmac_f16_e32 v3, v9, v7
	s_waitcnt vmcnt(3)
	v_lshrrev_b32_e32 v9, 16, v5
	s_waitcnt vmcnt(2)
	v_lshrrev_b32_e32 v15, 16, v0
	v_mul_f16_sdwa v7, v11, v8 dst_sel:DWORD dst_unused:UNUSED_PAD src0_sel:WORD_1 src1_sel:DWORD
	v_fma_f16 v8, v11, v8, -v16
	s_waitcnt vmcnt(1)
	v_mul_f16_sdwa v16, v1, v5 dst_sel:DWORD dst_unused:UNUSED_PAD src0_sel:WORD_1 src1_sel:DWORD
	v_pack_b32_f16 v3, v3, v13
	v_mul_f16_sdwa v13, v1, v9 dst_sel:DWORD dst_unused:UNUSED_PAD src0_sel:WORD_1 src1_sel:DWORD
	s_waitcnt vmcnt(0)
	v_mul_f16_sdwa v17, v6, v15 dst_sel:DWORD dst_unused:UNUSED_PAD src0_sel:WORD_1 src1_sel:DWORD
	v_mul_f16_sdwa v18, v6, v0 dst_sel:DWORD dst_unused:UNUSED_PAD src0_sel:WORD_1 src1_sel:DWORD
	v_fmac_f16_e32 v7, v11, v10
	v_fma_f16 v9, v1, v9, -v16
	v_fmac_f16_e32 v13, v1, v5
	v_fmac_f16_e32 v17, v6, v0
	v_fma_f16 v0, v6, v15, -v18
	v_add_nc_u32_e32 v1, 0x380, v71
	v_pack_b32_f16 v5, v7, v8
	v_pack_b32_f16 v6, v13, v9
	v_add_nc_u32_e32 v7, 0xb00, v71
	v_pack_b32_f16 v0, v17, v0
	ds_write2_b32 v1, v12, v3 offset0:1 offset1:241
	ds_write2_b32 v7, v5, v6 offset0:1 offset1:241
	ds_write_b32 v71, v0 offset:4740
.LBB0_3:
	s_or_b32 exec_lo, exec_lo, s2
	v_add_nc_u32_e32 v0, 0x600, v71
	v_add_nc_u32_e32 v1, 0xe00, v71
	s_waitcnt lgkmcnt(0)
	s_barrier
	buffer_gl0_inv
	ds_read2_b32 v[12:13], v71 offset1:75
	ds_read2_b32 v[6:7], v71 offset0:150 offset1:240
	ds_read2_b32 v[10:11], v0 offset0:96 offset1:171
	;; [unrolled: 1-line block ×6, first 2 shown]
	ds_read_b32 v20, v71 offset:4440
                                        ; implicit-def: $vgpr14
                                        ; implicit-def: $vgpr17
                                        ; implicit-def: $vgpr19
	s_and_saveexec_b32 s0, vcc_lo
	s_cbranch_execz .LBB0_5
; %bb.4:
	v_add_nc_u32_e32 v14, 0x380, v71
	v_add_nc_u32_e32 v15, 0xb00, v71
	ds_read2_b32 v[16:17], v14 offset0:1 offset1:241
	ds_read2_b32 v[14:15], v15 offset0:1 offset1:241
	ds_read_b32 v19, v71 offset:4740
.LBB0_5:
	s_or_b32 exec_lo, exec_lo, s0
	v_add_co_u32 v44, s0, 0x4b, v84
	v_add_co_ci_u32_e64 v18, null, 0, 0, s0
	v_add_co_u32 v43, s0, 0x96, v84
	v_add_co_ci_u32_e64 v18, null, 0, 0, s0
	s_waitcnt lgkmcnt(0)
	v_pk_add_f16 v18, v17, v19 neg_lo:[0,1] neg_hi:[0,1]
	v_pk_add_f16 v26, v14, v15
	v_pk_add_f16 v24, v14, v15 neg_lo:[0,1] neg_hi:[0,1]
	v_pk_add_f16 v25, v17, v16
	v_pk_add_f16 v27, v17, v19
	v_pk_mul_f16 v30, 0x3b9c, v18 op_sel_hi:[0,1]
	v_pk_fma_f16 v26, v26, 0.5, v16 op_sel_hi:[1,0,1] neg_lo:[1,0,0] neg_hi:[1,0,0]
	v_pk_add_f16 v28, v14, v17 neg_lo:[0,1] neg_hi:[0,1]
	v_pk_add_f16 v25, v14, v25
	v_pk_fma_f16 v16, v27, 0.5, v16 op_sel_hi:[1,0,1] neg_lo:[1,0,0] neg_hi:[1,0,0]
	v_pk_mul_f16 v27, 0x3b9c, v24 op_sel_hi:[0,1]
	v_pk_mul_f16 v24, 0x38b4, v24 op_sel_hi:[0,1]
	v_pk_add_f16 v38, v26, v30 op_sel:[0,1] op_sel_hi:[1,0] neg_lo:[0,1] neg_hi:[0,1]
	v_pk_add_f16 v26, v26, v30 op_sel:[0,1] op_sel_hi:[1,0]
	v_pk_add_f16 v29, v15, v19 neg_lo:[0,1] neg_hi:[0,1]
	v_pk_add_f16 v25, v15, v25
	v_pk_add_f16 v14, v17, v14 neg_lo:[0,1] neg_hi:[0,1]
	v_pk_add_f16 v15, v19, v15 neg_lo:[0,1] neg_hi:[0,1]
	v_pk_add_f16 v17, v38, v24 op_sel:[0,1] op_sel_hi:[1,0] neg_lo:[0,1] neg_hi:[0,1]
	v_pk_add_f16 v24, v26, v24 op_sel:[0,1] op_sel_hi:[1,0]
	v_pk_add_f16 v30, v16, v27 op_sel:[0,1] op_sel_hi:[1,0] neg_lo:[0,1] neg_hi:[0,1]
	v_pk_mul_f16 v18, 0x38b4, v18 op_sel_hi:[0,1]
	v_pk_add_f16 v16, v27, v16 op_sel:[1,0] op_sel_hi:[0,1]
	v_pk_add_f16 v14, v14, v15
	v_bfi_b32 v15, 0xffff, v24, v17
	v_bfi_b32 v24, 0xffff, v17, v24
	v_pk_add_f16 v26, v18, v30 op_sel:[1,0] op_sel_hi:[0,1]
	v_pk_add_f16 v27, v28, v29
	v_pk_add_f16 v28, v16, v18 op_sel:[0,1] op_sel_hi:[1,0] neg_lo:[0,1] neg_hi:[0,1]
	v_pk_fma_f16 v17, 0x34f2, v14, v15 op_sel_hi:[0,1,1]
	v_pk_fma_f16 v30, 0x34f2, v14, v24 op_sel_hi:[0,1,1]
	v_pk_add_f16 v15, v10, v3
	v_pk_add_f16 v24, v7, v8 neg_lo:[0,1] neg_hi:[0,1]
	v_pk_fma_f16 v18, 0x34f2, v27, v26 op_sel_hi:[0,1,1]
	v_pk_add_f16 v16, v19, v25
	v_pk_fma_f16 v19, 0x34f2, v27, v28 op_sel_hi:[0,1,1]
	v_pk_add_f16 v25, v10, v3 neg_lo:[0,1] neg_hi:[0,1]
	v_pk_fma_f16 v15, v15, 0.5, v12 op_sel_hi:[1,0,1] neg_lo:[1,0,0] neg_hi:[1,0,0]
	v_pk_mul_f16 v26, 0x3b9c, v24 op_sel_hi:[0,1]
	v_pk_add_f16 v28, v7, v8
	v_pk_add_f16 v21, v12, v7
	v_pk_mul_f16 v27, 0x38b4, v25 op_sel_hi:[0,1]
	v_pk_mul_f16 v25, 0x3b9c, v25 op_sel_hi:[0,1]
	v_pk_add_f16 v38, v15, v26 op_sel:[0,1] op_sel_hi:[1,0]
	v_pk_add_f16 v15, v15, v26 op_sel:[0,1] op_sel_hi:[1,0] neg_lo:[0,1] neg_hi:[0,1]
	v_pk_fma_f16 v12, v28, 0.5, v12 op_sel_hi:[1,0,1] neg_lo:[1,0,0] neg_hi:[1,0,0]
	v_mul_lo_u16 v14, v84, 5
	v_pk_add_f16 v21, v21, v10
	v_pk_add_f16 v29, v7, v10 neg_lo:[0,1] neg_hi:[0,1]
	v_pk_add_f16 v26, v8, v3 neg_lo:[0,1] neg_hi:[0,1]
	v_pk_add_f16 v28, v38, v27 op_sel:[0,1] op_sel_hi:[1,0]
	v_pk_add_f16 v15, v15, v27 op_sel:[0,1] op_sel_hi:[1,0] neg_lo:[0,1] neg_hi:[0,1]
	v_pk_mul_f16 v24, 0x38b4, v24 op_sel_hi:[0,1]
	v_pk_add_f16 v27, v12, v25 op_sel:[0,1] op_sel_hi:[1,0] neg_lo:[0,1] neg_hi:[0,1]
	v_pk_add_f16 v12, v12, v25 op_sel:[0,1] op_sel_hi:[1,0]
	v_and_b32_e32 v14, 0xffff, v14
	v_pk_add_f16 v21, v21, v3
	v_pk_add_f16 v26, v29, v26
	v_bfi_b32 v25, 0xffff, v28, v15
	v_pk_add_f16 v7, v10, v7 neg_lo:[0,1] neg_hi:[0,1]
	v_pk_add_f16 v3, v3, v8 neg_lo:[0,1] neg_hi:[0,1]
	v_pk_add_f16 v10, v27, v24 op_sel:[0,1] op_sel_hi:[1,0]
	v_pk_add_f16 v12, v12, v24 op_sel:[0,1] op_sel_hi:[1,0] neg_lo:[0,1] neg_hi:[0,1]
	v_lshl_add_u32 v91, v14, 2, v89
	v_pk_add_f16 v8, v21, v8
	v_pk_fma_f16 v14, 0x34f2, v26, v25 op_sel_hi:[0,1,1]
	v_pk_add_f16 v3, v7, v3
	v_bfi_b32 v7, 0xffff, v10, v12
	v_bfi_b32 v10, 0xffff, v12, v10
	s_barrier
	buffer_gl0_inv
	ds_write2_b32 v91, v8, v14 offset1:1
	v_pk_fma_f16 v7, 0x34f2, v3, v7 op_sel_hi:[0,1,1]
	v_mul_u32_u24_e32 v12, 5, v44
	v_pk_fma_f16 v3, 0x34f2, v3, v10 op_sel_hi:[0,1,1]
	v_pk_add_f16 v10, v11, v0
	v_pk_add_f16 v14, v4, v9 neg_lo:[0,1] neg_hi:[0,1]
	v_bfi_b32 v8, 0xffff, v15, v28
	v_lshl_add_u32 v90, v12, 2, v89
	v_pk_add_f16 v12, v11, v0 neg_lo:[0,1] neg_hi:[0,1]
	v_pk_fma_f16 v10, v10, 0.5, v13 op_sel_hi:[1,0,1] neg_lo:[1,0,0] neg_hi:[1,0,0]
	v_pk_mul_f16 v15, 0x3b9c, v14 op_sel_hi:[0,1]
	v_pk_add_f16 v21, v4, v9
	v_pk_add_f16 v22, v13, v4
	v_pk_fma_f16 v8, 0x34f2, v26, v8 op_sel_hi:[0,1,1]
	v_pk_mul_f16 v24, 0x38b4, v12 op_sel_hi:[0,1]
	v_pk_add_f16 v26, v10, v15 op_sel:[0,1] op_sel_hi:[1,0]
	v_pk_fma_f16 v13, v21, 0.5, v13 op_sel_hi:[1,0,1] neg_lo:[1,0,0] neg_hi:[1,0,0]
	v_pk_mul_f16 v12, 0x3b9c, v12 op_sel_hi:[0,1]
	v_pk_add_f16 v10, v10, v15 op_sel:[0,1] op_sel_hi:[1,0] neg_lo:[0,1] neg_hi:[0,1]
	v_pk_mul_f16 v14, 0x38b4, v14 op_sel_hi:[0,1]
	v_pk_add_f16 v15, v26, v24 op_sel:[0,1] op_sel_hi:[1,0]
	v_pk_add_f16 v22, v22, v11
	v_pk_add_f16 v26, v13, v12 op_sel:[0,1] op_sel_hi:[1,0] neg_lo:[0,1] neg_hi:[0,1]
	v_pk_add_f16 v12, v13, v12 op_sel:[0,1] op_sel_hi:[1,0]
	v_pk_add_f16 v25, v4, v11 neg_lo:[0,1] neg_hi:[0,1]
	v_pk_add_f16 v4, v11, v4 neg_lo:[0,1] neg_hi:[0,1]
	;; [unrolled: 1-line block ×3, first 2 shown]
	v_pk_add_f16 v13, v26, v14 op_sel:[0,1] op_sel_hi:[1,0]
	v_pk_add_f16 v12, v12, v14 op_sel:[0,1] op_sel_hi:[1,0] neg_lo:[0,1] neg_hi:[0,1]
	v_pk_add_f16 v21, v9, v0 neg_lo:[0,1] neg_hi:[0,1]
	v_pk_add_f16 v10, v10, v24 op_sel:[0,1] op_sel_hi:[1,0] neg_lo:[0,1] neg_hi:[0,1]
	v_pk_add_f16 v4, v4, v11
	v_pk_add_f16 v0, v22, v0
	v_bfi_b32 v11, 0xffff, v13, v12
	v_bfi_b32 v12, 0xffff, v12, v13
	v_pk_add_f16 v14, v25, v21
	v_bfi_b32 v21, 0xffff, v15, v10
	ds_write2_b32 v91, v7, v3 offset0:2 offset1:3
	v_pk_fma_f16 v3, 0x34f2, v4, v11 op_sel_hi:[0,1,1]
	v_pk_fma_f16 v4, 0x34f2, v4, v12 op_sel_hi:[0,1,1]
	v_pk_add_f16 v0, v0, v9
	v_pk_fma_f16 v9, 0x34f2, v14, v21 op_sel_hi:[0,1,1]
	ds_write_b32 v91, v8 offset:16
	ds_write2_b32 v90, v0, v9 offset1:1
	v_mul_u32_u24_e32 v7, 5, v43
	ds_write2_b32 v90, v3, v4 offset0:2 offset1:3
	v_pk_add_f16 v3, v2, v1
	v_pk_add_f16 v4, v5, v20 neg_lo:[0,1] neg_hi:[0,1]
	v_pk_add_f16 v9, v5, v20
	v_lshl_add_u32 v92, v7, 2, v89
	v_pk_add_f16 v7, v2, v1 neg_lo:[0,1] neg_hi:[0,1]
	v_pk_fma_f16 v3, v3, 0.5, v6 op_sel_hi:[1,0,1] neg_lo:[1,0,0] neg_hi:[1,0,0]
	v_pk_mul_f16 v8, 0x3b9c, v4 op_sel_hi:[0,1]
	v_pk_add_f16 v23, v6, v5
	v_pk_fma_f16 v6, v9, 0.5, v6 op_sel_hi:[1,0,1] neg_lo:[1,0,0] neg_hi:[1,0,0]
	v_pk_mul_f16 v11, 0x38b4, v7 op_sel_hi:[0,1]
	v_pk_mul_f16 v7, 0x3b9c, v7 op_sel_hi:[0,1]
	v_pk_add_f16 v13, v3, v8 op_sel:[0,1] op_sel_hi:[1,0]
	s_load_dwordx2 s[2:3], s[4:5], 0x8
	v_pk_add_f16 v3, v3, v8 op_sel:[0,1] op_sel_hi:[1,0] neg_lo:[0,1] neg_hi:[0,1]
	v_pk_mul_f16 v4, 0x38b4, v4 op_sel_hi:[0,1]
	v_bfi_b32 v0, 0xffff, v10, v15
	v_pk_add_f16 v8, v13, v11 op_sel:[0,1] op_sel_hi:[1,0]
	v_pk_add_f16 v13, v6, v7 op_sel:[0,1] op_sel_hi:[1,0] neg_lo:[0,1] neg_hi:[0,1]
	v_pk_add_f16 v6, v6, v7 op_sel:[0,1] op_sel_hi:[1,0]
	v_pk_add_f16 v10, v23, v2
	v_pk_add_f16 v12, v5, v2 neg_lo:[0,1] neg_hi:[0,1]
	v_pk_add_f16 v9, v20, v1 neg_lo:[0,1] neg_hi:[0,1]
	v_pk_add_f16 v3, v3, v11 op_sel:[0,1] op_sel_hi:[1,0] neg_lo:[0,1] neg_hi:[0,1]
	v_pk_add_f16 v2, v2, v5 neg_lo:[0,1] neg_hi:[0,1]
	v_pk_add_f16 v5, v1, v20 neg_lo:[0,1] neg_hi:[0,1]
	v_pk_add_f16 v7, v13, v4 op_sel:[0,1] op_sel_hi:[1,0]
	v_pk_add_f16 v4, v6, v4 op_sel:[0,1] op_sel_hi:[1,0] neg_lo:[0,1] neg_hi:[0,1]
	v_add_co_u32 v42, null, 0xe1, v84
	v_pk_add_f16 v1, v10, v1
	v_pk_add_f16 v6, v12, v9
	v_bfi_b32 v9, 0xffff, v8, v3
	v_pk_add_f16 v2, v2, v5
	v_bfi_b32 v5, 0xffff, v7, v4
	v_bfi_b32 v4, 0xffff, v4, v7
	;; [unrolled: 1-line block ×3, first 2 shown]
	v_lshrrev_b32_e32 v45, 16, v18
	v_pk_fma_f16 v0, 0x34f2, v14, v0 op_sel_hi:[0,1,1]
	v_mul_u32_u24_e32 v93, 5, v42
	v_pk_add_f16 v1, v1, v20
	v_pk_fma_f16 v7, 0x34f2, v6, v9 op_sel_hi:[0,1,1]
	v_pk_fma_f16 v5, 0x34f2, v2, v5 op_sel_hi:[0,1,1]
	;; [unrolled: 1-line block ×4, first 2 shown]
	ds_write_b32 v90, v0 offset:16
	ds_write2_b32 v92, v1, v7 offset1:1
	ds_write2_b32 v92, v5, v2 offset0:2 offset1:3
	ds_write_b32 v92, v3 offset:16
	s_and_saveexec_b32 s0, vcc_lo
	s_cbranch_execz .LBB0_7
; %bb.6:
	v_lshl_add_u32 v0, v93, 2, v89
	v_bfi_b32 v1, 0xffff, v18, v19
	v_perm_b32 v2, v45, v19, 0x5040100
	ds_write2_b32 v0, v16, v17 offset1:1
	ds_write2_b32 v0, v1, v2 offset0:2 offset1:3
	ds_write_b32 v0, v30 offset:16
.LBB0_7:
	s_or_b32 exec_lo, exec_lo, s0
	v_add_nc_u32_e32 v0, 0x600, v71
	v_add_nc_u32_e32 v1, 0x800, v71
	;; [unrolled: 1-line block ×5, first 2 shown]
	s_waitcnt lgkmcnt(0)
	s_barrier
	buffer_gl0_inv
	ds_read2_b32 v[20:21], v71 offset1:75
	ds_read2_b32 v[22:23], v71 offset0:150 offset1:240
	ds_read2_b32 v[26:27], v0 offset0:96 offset1:171
	ds_read2_b32 v[38:39], v1 offset0:118 offset1:208
	ds_read2_b32 v[24:25], v2 offset0:64 offset1:139
	ds_read2_b32 v[40:41], v3 offset0:59 offset1:134
	ds_read2_b32 v[28:29], v4 offset0:27 offset1:102
	ds_read_b32 v48, v71 offset:4440
	v_lshrrev_b32_e32 v47, 16, v17
	s_and_saveexec_b32 s0, vcc_lo
	s_cbranch_execz .LBB0_9
; %bb.8:
	v_add_nc_u32_e32 v0, 0x380, v71
	v_add_nc_u32_e32 v1, 0xb00, v71
	ds_read2_b32 v[16:17], v0 offset0:1 offset1:241
	ds_read2_b32 v[18:19], v1 offset0:1 offset1:241
	ds_read_b32 v30, v71 offset:4740
	s_waitcnt lgkmcnt(2)
	v_lshrrev_b32_e32 v47, 16, v17
	s_waitcnt lgkmcnt(1)
	v_lshrrev_b32_e32 v45, 16, v19
	v_bfi_b32 v19, 0xffff, v19, v18
.LBB0_9:
	s_or_b32 exec_lo, exec_lo, s0
	v_and_b32_e32 v0, 0xff, v43
	v_and_b32_e32 v46, 0xff, v84
	v_mov_b32_e32 v63, 25
	s_waitcnt lgkmcnt(2)
	v_lshrrev_b32_e32 v59, 16, v41
	v_lshrrev_b32_e32 v60, 16, v38
	v_mul_lo_u16 v0, 0xcd, v0
	v_mul_lo_u16 v1, 0xcd, v46
	s_waitcnt lgkmcnt(1)
	v_lshrrev_b32_e32 v61, 16, v29
	s_waitcnt lgkmcnt(0)
	v_lshrrev_b32_e32 v62, 16, v48
	v_lshrrev_b32_e32 v64, 16, v23
	v_lshrrev_b16 v51, 10, v0
	v_and_b32_e32 v0, 0xff, v44
	v_lshrrev_b16 v53, 10, v1
	v_mov_b32_e32 v1, 4
	v_lshrrev_b32_e32 v65, 16, v39
	v_mul_lo_u16 v2, v51, 5
	v_mul_lo_u16 v0, 0xcd, v0
	v_mul_u32_u24_sdwa v51, v51, v63 dst_sel:DWORD dst_unused:UNUSED_PAD src0_sel:WORD_0 src1_sel:DWORD
	v_lshrrev_b32_e32 v66, 16, v40
	v_lshrrev_b32_e32 v67, 16, v26
	v_sub_nc_u16 v50, v43, v2
	v_lshrrev_b16 v54, 10, v0
	v_mul_lo_u16 v0, v53, 5
	v_mul_u32_u24_sdwa v53, v53, v63 dst_sel:DWORD dst_unused:UNUSED_PAD src0_sel:WORD_0 src1_sel:DWORD
	v_lshrrev_b32_e32 v68, 16, v27
	v_lshlrev_b32_sdwa v2, v1, v50 dst_sel:DWORD dst_unused:UNUSED_PAD src0_sel:DWORD src1_sel:BYTE_0
	v_mul_lo_u16 v3, v54, 5
	v_sub_nc_u16 v55, v84, v0
	v_mul_u32_u24_sdwa v54, v54, v63 dst_sel:DWORD dst_unused:UNUSED_PAD src0_sel:WORD_0 src1_sel:DWORD
	v_lshrrev_b32_e32 v69, 16, v28
	global_load_dwordx4 v[4:7], v2, s[2:3]
	v_sub_nc_u16 v56, v44, v3
	v_lshlrev_b32_sdwa v0, v1, v55 dst_sel:DWORD dst_unused:UNUSED_PAD src0_sel:DWORD src1_sel:BYTE_0
	v_lshrrev_b32_e32 v70, 16, v24
	v_lshrrev_b32_e32 v88, 16, v25
	v_add_nc_u32_sdwa v53, v53, v55 dst_sel:DWORD dst_unused:UNUSED_PAD src0_sel:DWORD src1_sel:BYTE_0
	v_lshlrev_b32_sdwa v1, v1, v56 dst_sel:DWORD dst_unused:UNUSED_PAD src0_sel:DWORD src1_sel:BYTE_0
	v_add_nc_u32_sdwa v54, v54, v56 dst_sel:DWORD dst_unused:UNUSED_PAD src0_sel:DWORD src1_sel:BYTE_0
	v_add_nc_u32_sdwa v51, v51, v50 dst_sel:DWORD dst_unused:UNUSED_PAD src0_sel:DWORD src1_sel:BYTE_0
	s_clause 0x1
	global_load_dwordx4 v[12:15], v0, s[2:3]
	global_load_dwordx4 v[8:11], v1, s[2:3]
	v_mov_b32_e32 v0, 0xcccd
	v_lshrrev_b32_e32 v63, 16, v19
	v_lshrrev_b32_e32 v99, 16, v30
	v_lshl_add_u32 v95, v53, 2, v89
	v_lshl_add_u32 v97, v54, 2, v89
	v_mul_u32_u24_sdwa v0, v42, v0 dst_sel:DWORD dst_unused:UNUSED_PAD src0_sel:WORD_0 src1_sel:DWORD
	v_lshl_add_u32 v96, v51, 2, v89
	v_lshrrev_b32_e32 v49, 16, v22
	v_lshrrev_b32_e32 v52, 16, v21
	;; [unrolled: 1-line block ×5, first 2 shown]
	v_mul_lo_u16 v0, v57, 5
	v_sub_nc_u16 v58, v42, v0
	v_mov_b32_e32 v0, 2
	v_lshlrev_b16 v1, 2, v58
	v_mad_u16 v94, v57, 25, v58
	v_lshlrev_b32_sdwa v0, v0, v1 dst_sel:DWORD dst_unused:UNUSED_PAD src0_sel:DWORD src1_sel:WORD_0
	global_load_dwordx4 v[0:3], v0, s[2:3]
	s_waitcnt vmcnt(0)
	s_barrier
	buffer_gl0_inv
	v_mul_f16_sdwa v51, v59, v4 dst_sel:DWORD dst_unused:UNUSED_PAD src0_sel:DWORD src1_sel:WORD_1
	v_mul_f16_sdwa v53, v41, v4 dst_sel:DWORD dst_unused:UNUSED_PAD src0_sel:DWORD src1_sel:WORD_1
	;; [unrolled: 1-line block ×8, first 2 shown]
	v_fma_f16 v41, v41, v4, -v51
	v_mul_f16_sdwa v100, v64, v12 dst_sel:DWORD dst_unused:UNUSED_PAD src0_sel:DWORD src1_sel:WORD_1
	v_mul_f16_sdwa v101, v23, v12 dst_sel:DWORD dst_unused:UNUSED_PAD src0_sel:DWORD src1_sel:WORD_1
	;; [unrolled: 1-line block ×16, first 2 shown]
	v_fmac_f16_e32 v53, v59, v4
	v_fma_f16 v38, v38, v5, -v54
	v_fmac_f16_e32 v55, v60, v5
	v_fma_f16 v29, v29, v6, -v56
	v_fma_f16 v48, v48, v7, -v58
	v_fmac_f16_e32 v57, v61, v6
	v_fmac_f16_e32 v102, v62, v7
	v_fma_f16 v51, v23, v12, -v100
	v_fma_f16 v39, v39, v14, -v103
	;; [unrolled: 1-line block ×8, first 2 shown]
	v_fmac_f16_e32 v101, v64, v12
	v_fmac_f16_e32 v109, v67, v13
	;; [unrolled: 1-line block ×8, first 2 shown]
	v_mul_f16_sdwa v27, v63, v1 dst_sel:DWORD dst_unused:UNUSED_PAD src0_sel:DWORD src1_sel:WORD_1
	v_mul_f16_sdwa v24, v18, v1 dst_sel:DWORD dst_unused:UNUSED_PAD src0_sel:DWORD src1_sel:WORD_1
	;; [unrolled: 1-line block ×8, first 2 shown]
	v_add_f16_e32 v64, v22, v41
	v_add_f16_e32 v65, v38, v29
	;; [unrolled: 1-line block ×3, first 2 shown]
	v_sub_f16_e32 v67, v38, v41
	v_add_f16_e32 v69, v55, v57
	v_add_f16_e32 v70, v53, v102
	v_sub_f16_e32 v88, v55, v53
	v_sub_f16_e32 v100, v57, v102
	v_add_f16_e32 v103, v49, v53
	v_sub_f16_e32 v111, v41, v48
	v_add_f16_e32 v113, v56, v28
	v_add_f16_e32 v114, v40, v59
	;; [unrolled: 1-line block ×3, first 2 shown]
	v_sub_f16_e32 v118, v56, v40
	v_sub_f16_e32 v119, v28, v59
	v_add_f16_e32 v121, v106, v116
	v_add_f16_e32 v122, v52, v106
	v_sub_f16_e32 v123, v110, v106
	v_sub_f16_e32 v127, v106, v116
	;; [unrolled: 1-line block ×3, first 2 shown]
	v_add_f16_e32 v129, v54, v39
	v_add_f16_e32 v130, v51, v58
	;; [unrolled: 1-line block ×3, first 2 shown]
	v_sub_f16_e32 v132, v51, v54
	v_sub_f16_e32 v134, v101, v109
	v_add_f16_e32 v136, v98, v101
	v_add_f16_e32 v137, v109, v104
	v_sub_f16_e32 v138, v101, v115
	v_sub_f16_e32 v140, v51, v58
	v_fma_f16 v18, v18, v1, -v27
	v_fmac_f16_e32 v24, v63, v1
	v_fma_f16 v19, v19, v2, -v60
	v_fmac_f16_e32 v25, v45, v2
	v_sub_f16_e32 v45, v54, v51
	v_sub_f16_e32 v51, v39, v58
	;; [unrolled: 1-line block ×3, first 2 shown]
	v_add_f16_e32 v63, v101, v115
	v_sub_f16_e32 v101, v104, v115
	v_fma_f16 v27, v30, v3, -v61
	v_fmac_f16_e32 v23, v99, v3
	v_sub_f16_e32 v30, v40, v56
	v_sub_f16_e32 v40, v59, v28
	;; [unrolled: 1-line block ×6, first 2 shown]
	v_fmac_f16_e32 v26, v47, v0
	v_fma_f16 v17, v17, v0, -v62
	v_sub_f16_e32 v68, v29, v48
	v_add_f16_e32 v120, v110, v112
	v_sub_f16_e32 v105, v55, v57
	v_sub_f16_e32 v107, v38, v29
	;; [unrolled: 1-line block ×9, first 2 shown]
	v_fma_f16 v47, -0.5, v65, v22
	v_fmac_f16_e32 v22, -0.5, v66
	v_fma_f16 v65, -0.5, v69, v49
	v_fmac_f16_e32 v49, -0.5, v70
	v_add_f16_e32 v70, v88, v100
	v_fma_f16 v88, -0.5, v113, v21
	v_add_f16_e32 v113, v118, v119
	v_fma_f16 v119, -0.5, v129, v20
	v_add_f16_e32 v54, v131, v54
	v_add_f16_e32 v66, v136, v109
	v_fma_f16 v109, -0.5, v137, v98
	v_add_f16_e32 v45, v45, v51
	v_fmac_f16_e32 v98, -0.5, v63
	v_add_f16_e32 v60, v60, v101
	v_add_f16_e32 v51, v117, v56
	;; [unrolled: 1-line block ×8, first 2 shown]
	v_sub_f16_e32 v61, v17, v18
	v_sub_f16_e32 v63, v27, v19
	;; [unrolled: 1-line block ×4, first 2 shown]
	v_add_f16_e32 v101, v18, v19
	v_add_f16_e32 v106, v17, v27
	;; [unrolled: 1-line block ×5, first 2 shown]
	v_fma_f16 v20, -0.5, v130, v20
	v_sub_f16_e32 v64, v18, v17
	v_sub_f16_e32 v67, v19, v27
	;; [unrolled: 1-line block ×3, first 2 shown]
	v_fmac_f16_e32 v21, -0.5, v114
	v_fma_f16 v114, -0.5, v120, v52
	v_sub_f16_e32 v125, v110, v112
	v_fmac_f16_e32 v52, -0.5, v121
	v_add_f16_e32 v118, v123, v124
	v_add_f16_e32 v120, v132, v133
	v_sub_f16_e32 v68, v26, v24
	v_sub_f16_e32 v69, v23, v25
	;; [unrolled: 1-line block ×6, first 2 shown]
	v_add_f16_e32 v39, v54, v39
	v_add_f16_e32 v54, v66, v104
	v_fmamk_f16 v104, v138, 0x3b9c, v119
	v_fmamk_f16 v133, v140, 0xbb9c, v109
	v_add_f16_e32 v28, v51, v28
	v_add_f16_e32 v29, v38, v29
	;; [unrolled: 1-line block ×5, first 2 shown]
	v_fma_f16 v101, -0.5, v101, v16
	v_fma_f16 v51, -0.5, v106, v16
	;; [unrolled: 1-line block ×4, first 2 shown]
	v_sub_f16_e32 v142, v102, v57
	v_add_f16_e32 v40, v40, v112
	v_add_f16_e32 v57, v64, v67
	v_fmamk_f16 v64, v139, 0xbb9c, v20
	v_fmac_f16_e32 v20, 0x3b9c, v139
	v_fmamk_f16 v112, v141, 0x3b9c, v98
	v_fmac_f16_e32 v98, 0xbb9c, v141
	v_fmac_f16_e32 v119, 0xbb9c, v138
	;; [unrolled: 1-line block ×3, first 2 shown]
	v_add_f16_e32 v121, v134, v135
	v_fmamk_f16 v134, v127, 0x3b9c, v88
	v_fmamk_f16 v135, v128, 0xbb9c, v114
	;; [unrolled: 1-line block ×3, first 2 shown]
	v_fmac_f16_e32 v21, 0x3b9c, v125
	v_fmamk_f16 v132, v126, 0x3b9c, v52
	v_fmac_f16_e32 v52, 0xbb9c, v126
	v_fmamk_f16 v129, v105, 0xbb9c, v22
	;; [unrolled: 2-line block ×3, first 2 shown]
	v_fmac_f16_e32 v49, 0xbb9c, v107
	v_add_f16_e32 v61, v68, v69
	v_fmac_f16_e32 v88, 0xbb9c, v127
	v_fmac_f16_e32 v114, 0x3b9c, v128
	v_fmamk_f16 v136, v108, 0x3b9c, v47
	v_fmac_f16_e32 v47, 0xbb9c, v108
	v_fmamk_f16 v137, v111, 0xbb9c, v65
	v_fmac_f16_e32 v65, 0x3b9c, v111
	v_fmac_f16_e32 v104, 0x38b4, v139
	;; [unrolled: 1-line block ×3, first 2 shown]
	v_fmamk_f16 v66, v103, 0x3b9c, v101
	v_fmac_f16_e32 v101, 0xbb9c, v103
	v_fmamk_f16 v67, v110, 0xbb9c, v51
	v_fmac_f16_e32 v51, 0x3b9c, v110
	;; [unrolled: 2-line block ×4, first 2 shown]
	v_fmac_f16_e32 v64, 0x38b4, v138
	v_fmac_f16_e32 v20, 0xb8b4, v138
	;; [unrolled: 1-line block ×12, first 2 shown]
	v_add_f16_e32 v53, v53, v142
	v_fmac_f16_e32 v22, 0xb8b4, v108
	v_fmac_f16_e32 v49, 0x38b4, v111
	v_add_f16_e32 v39, v39, v58
	v_add_f16_e32 v54, v54, v115
	v_fmac_f16_e32 v88, 0xb8b4, v125
	v_fmac_f16_e32 v114, 0x38b4, v126
	;; [unrolled: 1-line block ×18, first 2 shown]
	v_add_f16_e32 v29, v29, v48
	v_add_f16_e32 v38, v38, v102
	v_fmac_f16_e32 v64, 0x34f2, v45
	v_fmac_f16_e32 v20, 0x34f2, v45
	;; [unrolled: 1-line block ×4, first 2 shown]
	v_add_f16_e32 v28, v28, v59
	v_add_f16_e32 v40, v40, v116
	v_fmac_f16_e32 v119, 0x34f2, v120
	v_fmac_f16_e32 v109, 0x34f2, v121
	;; [unrolled: 1-line block ×10, first 2 shown]
	v_pack_b32_f16 v39, v39, v54
	v_fmac_f16_e32 v88, 0x34f2, v30
	v_fmac_f16_e32 v114, 0x34f2, v56
	;; [unrolled: 1-line block ×8, first 2 shown]
	v_pack_b32_f16 v30, v104, v133
	v_fmac_f16_e32 v66, 0x34f2, v55
	v_fmac_f16_e32 v101, 0x34f2, v55
	;; [unrolled: 1-line block ×8, first 2 shown]
	v_pack_b32_f16 v29, v29, v38
	v_pack_b32_f16 v38, v64, v112
	;; [unrolled: 1-line block ×13, first 2 shown]
	ds_write2_b32 v95, v39, v30 offset1:5
	ds_write2_b32 v95, v38, v20 offset0:10 offset1:15
	ds_write_b32 v95, v40 offset:80
	ds_write2_b32 v97, v28, v41 offset1:5
	ds_write2_b32 v97, v45, v21 offset0:10 offset1:15
	ds_write_b32 v97, v48 offset:80
	;; [unrolled: 3-line block ×3, first 2 shown]
	s_and_saveexec_b32 s0, vcc_lo
	s_cbranch_execz .LBB0_11
; %bb.10:
	v_add_f16_e32 v20, v50, v26
	v_add_f16_e32 v16, v16, v17
	v_perm_b32 v21, v100, v51, 0x5040100
	v_add_f16_e32 v17, v20, v24
	v_add_f16_e32 v16, v16, v18
	v_and_b32_e32 v18, 0xffff, v94
	v_perm_b32 v20, v69, v67, 0x5040100
	v_add_f16_e32 v17, v17, v25
	v_add_f16_e32 v16, v16, v19
	v_lshl_add_u32 v18, v18, 2, v89
	v_perm_b32 v19, v68, v66, 0x5040100
	v_add_f16_e32 v17, v17, v23
	v_add_f16_e32 v16, v16, v27
	v_pack_b32_f16 v16, v16, v17
	v_perm_b32 v17, v99, v101, 0x5040100
	ds_write2_b32 v18, v20, v21 offset0:10 offset1:15
	ds_write2_b32 v18, v16, v19 offset1:5
	ds_write_b32 v18, v17 offset:80
.LBB0_11:
	s_or_b32 exec_lo, exec_lo, s0
	v_mul_lo_u16 v16, v46, 41
	s_waitcnt lgkmcnt(0)
	s_barrier
	buffer_gl0_inv
	v_add_nc_u32_e32 v60, 0x400, v71
	v_lshrrev_b16 v58, 10, v16
	v_add_nc_u32_e32 v61, 0x600, v71
	v_add_nc_u32_e32 v70, 0x800, v71
	;; [unrolled: 1-line block ×4, first 2 shown]
	v_mul_lo_u16 v16, v58, 25
	v_add_nc_u32_e32 v62, 0xc00, v71
	v_mov_b32_e32 v63, 0x190
	v_add_nc_u32_e32 v88, 0xe00, v71
	v_cmp_gt_u16_e64 s0, 25, v84
	v_sub_nc_u16 v16, v84, v16
	v_mul_u32_u24_sdwa v58, v58, v63 dst_sel:DWORD dst_unused:UNUSED_PAD src0_sel:WORD_0 src1_sel:DWORD
	v_and_b32_e32 v59, 0xff, v16
	v_mad_u64_u32 v[28:29], null, v59, 60, s[2:3]
	v_add_nc_u32_e32 v58, v58, v59
	s_clause 0x3
	global_load_dwordx4 v[24:27], v[28:29], off offset:80
	global_load_dwordx4 v[20:23], v[28:29], off offset:96
	;; [unrolled: 1-line block ×3, first 2 shown]
	global_load_dwordx3 v[28:30], v[28:29], off offset:128
	ds_read2_b32 v[38:39], v71 offset1:75
	ds_read2_b32 v[40:41], v71 offset0:150 offset1:225
	ds_read2_b32 v[45:46], v60 offset0:44 offset1:119
	;; [unrolled: 1-line block ×7, first 2 shown]
	v_lshl_add_u32 v98, v58, 2, v89
	s_waitcnt vmcnt(0) lgkmcnt(0)
	s_barrier
	buffer_gl0_inv
	v_add_nc_u32_e32 v113, 0x200, v98
	v_add_nc_u32_e32 v114, 0x400, v98
	v_lshrrev_b32_e32 v64, 16, v39
	v_lshrrev_b32_e32 v65, 16, v40
	;; [unrolled: 1-line block ×16, first 2 shown]
	v_mul_f16_sdwa v115, v64, v24 dst_sel:DWORD dst_unused:UNUSED_PAD src0_sel:DWORD src1_sel:WORD_1
	v_mul_f16_sdwa v116, v39, v24 dst_sel:DWORD dst_unused:UNUSED_PAD src0_sel:DWORD src1_sel:WORD_1
	;; [unrolled: 1-line block ×30, first 2 shown]
	v_fma_f16 v39, v39, v24, -v115
	v_fmac_f16_e32 v116, v64, v24
	v_fma_f16 v40, v40, v25, -v117
	v_fmac_f16_e32 v118, v65, v25
	;; [unrolled: 2-line block ×15, first 2 shown]
	v_sub_f16_e32 v49, v38, v49
	v_sub_f16_e32 v58, v63, v130
	;; [unrolled: 1-line block ×16, first 2 shown]
	v_fma_f16 v63, v63, 2.0, -v58
	v_fma_f16 v45, v45, 2.0, -v54
	;; [unrolled: 1-line block ×12, first 2 shown]
	v_sub_f16_e32 v59, v49, v59
	v_add_f16_e32 v54, v58, v54
	v_sub_f16_e32 v65, v52, v65
	v_add_f16_e32 v56, v64, v56
	;; [unrolled: 2-line block ×4, first 2 shown]
	v_fma_f16 v38, v38, 2.0, -v49
	v_fma_f16 v40, v40, 2.0, -v52
	;; [unrolled: 1-line block ×4, first 2 shown]
	v_sub_f16_e32 v106, v63, v106
	v_fma_f16 v49, v49, 2.0, -v59
	v_fma_f16 v58, v58, 2.0, -v54
	v_sub_f16_e32 v108, v107, v108
	v_fma_f16 v52, v52, 2.0, -v65
	v_fma_f16 v64, v64, 2.0, -v56
	;; [unrolled: 3-line block ×4, first 2 shown]
	v_fmamk_f16 v104, v65, 0x39a8, v59
	v_fmamk_f16 v112, v56, 0x39a8, v54
	v_sub_f16_e32 v45, v38, v45
	v_sub_f16_e32 v47, v40, v47
	;; [unrolled: 1-line block ×4, first 2 shown]
	v_fmamk_f16 v117, v105, 0x39a8, v103
	v_fmamk_f16 v118, v57, 0x39a8, v55
	v_fma_f16 v63, v63, 2.0, -v106
	v_fma_f16 v107, v107, 2.0, -v108
	;; [unrolled: 1-line block ×4, first 2 shown]
	v_fmamk_f16 v119, v52, 0xb9a8, v49
	v_fmamk_f16 v120, v64, 0xb9a8, v58
	v_fmac_f16_e32 v104, 0xb9a8, v56
	v_fmac_f16_e32 v112, 0x39a8, v65
	v_fmamk_f16 v56, v53, 0xb9a8, v115
	v_fmamk_f16 v65, v102, 0xb9a8, v116
	v_fma_f16 v40, v40, 2.0, -v47
	v_fma_f16 v41, v41, 2.0, -v48
	v_sub_f16_e32 v108, v45, v108
	v_add_f16_e32 v47, v106, v47
	v_sub_f16_e32 v121, v46, v50
	v_add_f16_e32 v48, v110, v48
	v_fmac_f16_e32 v117, 0xb9a8, v57
	v_fmac_f16_e32 v118, 0x39a8, v105
	v_fma_f16 v38, v38, 2.0, -v45
	v_fma_f16 v39, v39, 2.0, -v46
	v_sub_f16_e32 v57, v63, v107
	v_fmac_f16_e32 v119, 0xb9a8, v64
	v_fmac_f16_e32 v120, 0x39a8, v52
	v_sub_f16_e32 v64, v109, v111
	v_fmac_f16_e32 v56, 0xb9a8, v102
	v_fmac_f16_e32 v65, 0x39a8, v53
	v_fma_f16 v45, v45, 2.0, -v108
	v_fma_f16 v52, v106, 2.0, -v47
	;; [unrolled: 1-line block ×8, first 2 shown]
	v_sub_f16_e32 v40, v38, v40
	v_sub_f16_e32 v41, v39, v41
	v_fmamk_f16 v105, v121, 0x39a8, v108
	v_fmamk_f16 v106, v48, 0x39a8, v47
	;; [unrolled: 1-line block ×4, first 2 shown]
	v_fma_f16 v63, v63, 2.0, -v57
	v_fma_f16 v49, v49, 2.0, -v119
	;; [unrolled: 1-line block ×6, first 2 shown]
	v_fmamk_f16 v111, v46, 0xb9a8, v45
	v_fmamk_f16 v115, v53, 0xb9a8, v52
	;; [unrolled: 1-line block ×6, first 2 shown]
	v_fma_f16 v39, v39, 2.0, -v41
	v_sub_f16_e32 v64, v40, v64
	v_add_f16_e32 v41, v57, v41
	v_fmac_f16_e32 v105, 0xb9a8, v48
	v_fmac_f16_e32 v106, 0x39a8, v121
	;; [unrolled: 1-line block ×4, first 2 shown]
	v_fma_f16 v38, v38, 2.0, -v40
	v_sub_f16_e32 v48, v63, v107
	v_fmamk_f16 v107, v109, 0xbb64, v49
	v_fmamk_f16 v117, v110, 0xbb64, v58
	v_fmac_f16_e32 v111, 0xb9a8, v53
	v_fmac_f16_e32 v115, 0x39a8, v46
	v_fmac_f16_e32 v116, 0xbb64, v55
	v_fmac_f16_e32 v122, 0x3b64, v103
	v_fmac_f16_e32 v123, 0xbb64, v65
	v_fmac_f16_e32 v124, 0x3b64, v56
	v_fma_f16 v40, v40, 2.0, -v64
	v_fma_f16 v46, v57, 2.0, -v41
	;; [unrolled: 1-line block ×6, first 2 shown]
	v_sub_f16_e32 v39, v38, v39
	v_fmac_f16_e32 v107, 0xb61f, v110
	v_fmac_f16_e32 v117, 0x361f, v109
	v_fma_f16 v45, v45, 2.0, -v111
	v_fma_f16 v52, v52, 2.0, -v115
	;; [unrolled: 1-line block ×6, first 2 shown]
	v_pack_b32_f16 v40, v40, v46
	v_pack_b32_f16 v46, v53, v47
	;; [unrolled: 1-line block ×3, first 2 shown]
	v_fma_f16 v38, v38, 2.0, -v39
	v_fma_f16 v63, v63, 2.0, -v48
	;; [unrolled: 1-line block ×4, first 2 shown]
	v_pack_b32_f16 v41, v64, v41
	v_pack_b32_f16 v57, v105, v106
	;; [unrolled: 1-line block ×10, first 2 shown]
	ds_write2_b32 v98, v46, v47 offset0:150 offset1:175
	v_pack_b32_f16 v46, v107, v117
	v_pack_b32_f16 v38, v38, v63
	;; [unrolled: 1-line block ×3, first 2 shown]
	ds_write2_b32 v114, v57, v64 offset0:94 offset1:119
	ds_write2_b32 v113, v48, v53 offset0:122 offset1:147
	;; [unrolled: 1-line block ×6, first 2 shown]
	ds_write2_b32 v98, v38, v47 offset1:25
	s_waitcnt lgkmcnt(0)
	s_barrier
	buffer_gl0_inv
	ds_read2_b32 v[56:57], v71 offset1:75
	ds_read2_b32 v[52:53], v60 offset0:44 offset1:144
	ds_read2_b32 v[64:65], v62 offset0:32 offset1:107
	;; [unrolled: 1-line block ×6, first 2 shown]
	ds_read_b32 v70, v71 offset:4400
	s_and_saveexec_b32 s1, s0
	s_cbranch_execz .LBB0_13
; %bb.12:
	ds_read_b32 v50, v71 offset:1500
	ds_read_b32 v66, v71 offset:3100
	;; [unrolled: 1-line block ×3, first 2 shown]
	s_waitcnt lgkmcnt(2)
	v_lshrrev_b32_e32 v102, 16, v50
	s_waitcnt lgkmcnt(1)
	v_lshrrev_b32_e32 v68, 16, v66
	;; [unrolled: 2-line block ×3, first 2 shown]
.LBB0_13:
	s_or_b32 exec_lo, exec_lo, s1
	v_lshlrev_b32_e32 v38, 3, v84
	v_lshlrev_b32_e32 v39, 3, v44
	;; [unrolled: 1-line block ×3, first 2 shown]
	s_waitcnt lgkmcnt(6)
	v_lshrrev_b32_e32 v104, 16, v53
	s_waitcnt lgkmcnt(5)
	v_lshrrev_b32_e32 v105, 16, v64
	s_clause 0x1
	global_load_dwordx2 v[48:49], v38, s[2:3] offset:1580
	global_load_dwordx2 v[46:47], v39, s[2:3] offset:1580
	v_add_nc_u32_e32 v38, 0x960, v38
	v_lshlrev_b32_e32 v39, 3, v42
	s_clause 0x2
	global_load_dwordx2 v[44:45], v40, s[2:3] offset:1580
	global_load_dwordx2 v[42:43], v39, s[2:3] offset:1580
	;; [unrolled: 1-line block ×3, first 2 shown]
	v_add_co_u32 v38, s1, 0x177, v84
	v_add_co_ci_u32_e64 v39, null, 0, 0, s1
	v_add_co_u32 v88, s1, 0xffffffe7, v84
	v_add_co_ci_u32_e64 v103, null, 0, -1, s1
	s_waitcnt lgkmcnt(4)
	v_lshrrev_b32_e32 v107, 16, v62
	v_cndmask_b32_e64 v38, v88, v38, s0
	v_lshrrev_b32_e32 v108, 16, v65
	v_cndmask_b32_e64 v39, v103, v39, s0
	v_lshrrev_b32_e32 v110, 16, v63
	s_waitcnt lgkmcnt(2)
	v_lshrrev_b32_e32 v111, 16, v60
	s_waitcnt lgkmcnt(1)
	;; [unrolled: 2-line block ×3, first 2 shown]
	v_lshrrev_b32_e32 v117, 16, v70
	v_lshlrev_b64 v[38:39], 3, v[38:39]
	v_lshrrev_b32_e32 v103, 16, v56
	v_lshrrev_b32_e32 v109, 16, v54
	;; [unrolled: 1-line block ×5, first 2 shown]
	v_add_co_u32 v38, s1, s2, v38
	v_add_co_ci_u32_e64 v39, s1, s3, v39, s1
	v_lshrrev_b32_e32 v112, 16, v55
	v_lshrrev_b32_e32 v115, 16, v52
	v_lshl_add_u32 v88, v84, 2, v89
	global_load_dwordx2 v[38:39], v[38:39], off offset:1580
	s_waitcnt vmcnt(5)
	v_mul_f16_sdwa v118, v104, v48 dst_sel:DWORD dst_unused:UNUSED_PAD src0_sel:DWORD src1_sel:WORD_1
	v_mul_f16_sdwa v119, v53, v48 dst_sel:DWORD dst_unused:UNUSED_PAD src0_sel:DWORD src1_sel:WORD_1
	v_mul_f16_sdwa v120, v105, v49 dst_sel:DWORD dst_unused:UNUSED_PAD src0_sel:DWORD src1_sel:WORD_1
	v_mul_f16_sdwa v121, v64, v49 dst_sel:DWORD dst_unused:UNUSED_PAD src0_sel:DWORD src1_sel:WORD_1
	s_waitcnt vmcnt(4)
	v_mul_f16_sdwa v122, v107, v46 dst_sel:DWORD dst_unused:UNUSED_PAD src0_sel:DWORD src1_sel:WORD_1
	v_mul_f16_sdwa v123, v62, v46 dst_sel:DWORD dst_unused:UNUSED_PAD src0_sel:DWORD src1_sel:WORD_1
	v_mul_f16_sdwa v124, v108, v47 dst_sel:DWORD dst_unused:UNUSED_PAD src0_sel:DWORD src1_sel:WORD_1
	v_mul_f16_sdwa v125, v65, v47 dst_sel:DWORD dst_unused:UNUSED_PAD src0_sel:DWORD src1_sel:WORD_1
	;; [unrolled: 5-line block ×3, first 2 shown]
	s_waitcnt vmcnt(2)
	v_mul_f16_sdwa v131, v58, v42 dst_sel:DWORD dst_unused:UNUSED_PAD src0_sel:DWORD src1_sel:WORD_1
	v_mul_f16_sdwa v133, v61, v43 dst_sel:DWORD dst_unused:UNUSED_PAD src0_sel:DWORD src1_sel:WORD_1
	v_fma_f16 v53, v53, v48, -v118
	v_fmac_f16_e32 v119, v104, v48
	v_fma_f16 v64, v64, v49, -v120
	v_fmac_f16_e32 v121, v105, v49
	;; [unrolled: 2-line block ×5, first 2 shown]
	v_fma_f16 v60, v60, v45, -v128
	s_waitcnt vmcnt(1)
	v_mul_f16_sdwa v104, v116, v40 dst_sel:DWORD dst_unused:UNUSED_PAD src0_sel:DWORD src1_sel:WORD_1
	v_mul_f16_sdwa v105, v59, v40 dst_sel:DWORD dst_unused:UNUSED_PAD src0_sel:DWORD src1_sel:WORD_1
	;; [unrolled: 1-line block ×5, first 2 shown]
	v_fmac_f16_e32 v129, v111, v45
	v_fmac_f16_e32 v131, v113, v42
	v_mul_f16_sdwa v108, v70, v41 dst_sel:DWORD dst_unused:UNUSED_PAD src0_sel:DWORD src1_sel:WORD_1
	v_fmac_f16_e32 v133, v114, v43
	v_fma_f16 v59, v59, v40, -v104
	v_fmac_f16_e32 v105, v116, v40
	v_fma_f16 v70, v70, v41, -v107
	v_add_f16_e32 v104, v56, v53
	v_add_f16_e32 v107, v53, v64
	v_sub_f16_e32 v110, v119, v121
	v_add_f16_e32 v111, v103, v119
	v_add_f16_e32 v113, v119, v121
	;; [unrolled: 1-line block ×7, first 2 shown]
	v_fma_f16 v58, v58, v42, -v130
	v_fma_f16 v61, v61, v43, -v132
	v_fmac_f16_e32 v108, v117, v41
	v_sub_f16_e32 v53, v53, v64
	v_add_f16_e32 v114, v57, v62
	v_sub_f16_e32 v117, v123, v125
	v_add_f16_e32 v118, v106, v123
	v_sub_f16_e32 v62, v62, v65
	v_sub_f16_e32 v63, v63, v60
	;; [unrolled: 1-line block ×3, first 2 shown]
	v_add_f16_e32 v132, v112, v131
	v_add_f16_e32 v131, v131, v133
	;; [unrolled: 1-line block ×3, first 2 shown]
	v_fma_f16 v56, -0.5, v107, v56
	v_add_f16_e32 v104, v111, v121
	v_fmac_f16_e32 v103, -0.5, v113
	v_fmac_f16_e32 v57, -0.5, v116
	;; [unrolled: 1-line block ×3, first 2 shown]
	v_add_f16_e32 v60, v120, v60
	v_fma_f16 v54, -0.5, v122, v54
	v_add_f16_e32 v111, v124, v129
	s_waitcnt vmcnt(0)
	v_mul_f16_sdwa v120, v68, v38 dst_sel:DWORD dst_unused:UNUSED_PAD src0_sel:DWORD src1_sel:WORD_1
	v_mul_f16_sdwa v121, v66, v38 dst_sel:DWORD dst_unused:UNUSED_PAD src0_sel:DWORD src1_sel:WORD_1
	;; [unrolled: 1-line block ×4, first 2 shown]
	v_sub_f16_e32 v123, v127, v129
	v_add_f16_e32 v126, v127, v129
	v_add_f16_e32 v127, v55, v58
	;; [unrolled: 1-line block ×3, first 2 shown]
	v_sub_f16_e32 v58, v58, v61
	v_add_f16_e32 v65, v114, v65
	v_add_f16_e32 v107, v118, v125
	v_fmac_f16_e32 v112, -0.5, v131
	v_add_f16_e32 v114, v52, v59
	v_add_f16_e32 v116, v59, v70
	v_sub_f16_e32 v118, v105, v108
	v_add_f16_e32 v119, v115, v105
	v_add_f16_e32 v105, v105, v108
	v_fmamk_f16 v125, v110, 0x3aee, v56
	v_fmac_f16_e32 v56, 0xbaee, v110
	v_fmamk_f16 v110, v53, 0xbaee, v103
	v_fmac_f16_e32 v103, 0x3aee, v53
	v_fmamk_f16 v53, v117, 0x3aee, v57
	v_fmac_f16_e32 v57, 0xbaee, v117
	v_fmamk_f16 v117, v62, 0xbaee, v106
	v_fmac_f16_e32 v106, 0x3aee, v62
	v_fma_f16 v66, v66, v38, -v120
	v_fmac_f16_e32 v121, v68, v38
	v_fma_f16 v67, v67, v39, -v122
	v_fmac_f16_e32 v124, v69, v39
	v_fmac_f16_e32 v109, -0.5, v126
	v_fmac_f16_e32 v55, -0.5, v128
	v_sub_f16_e32 v59, v59, v70
	v_fmamk_f16 v126, v58, 0xbaee, v112
	v_fmac_f16_e32 v112, 0x3aee, v58
	v_add_f16_e32 v58, v114, v70
	v_fmac_f16_e32 v52, -0.5, v116
	v_add_f16_e32 v70, v119, v108
	v_fmac_f16_e32 v115, -0.5, v105
	v_pack_b32_f16 v56, v56, v103
	v_pack_b32_f16 v57, v57, v106
	v_add_f16_e32 v103, v66, v67
	v_add_f16_e32 v106, v121, v124
	;; [unrolled: 1-line block ×4, first 2 shown]
	v_fmamk_f16 v62, v123, 0x3aee, v54
	v_fmac_f16_e32 v54, 0xbaee, v123
	v_fmamk_f16 v123, v63, 0xbaee, v109
	v_fmac_f16_e32 v109, 0x3aee, v63
	v_fmamk_f16 v63, v130, 0x3aee, v55
	v_pack_b32_f16 v64, v64, v104
	v_fmamk_f16 v68, v118, 0x3aee, v52
	v_fmac_f16_e32 v52, 0xbaee, v118
	v_fmamk_f16 v69, v59, 0xbaee, v115
	v_fmac_f16_e32 v115, 0x3aee, v59
	v_pack_b32_f16 v59, v125, v110
	v_pack_b32_f16 v58, v58, v70
	v_add_f16_e32 v70, v50, v66
	v_sub_f16_e32 v104, v121, v124
	v_add_f16_e32 v105, v102, v121
	v_sub_f16_e32 v66, v66, v67
	v_fmac_f16_e32 v50, -0.5, v103
	v_fmac_f16_e32 v102, -0.5, v106
	v_fmac_f16_e32 v55, 0xbaee, v130
	v_pack_b32_f16 v65, v65, v107
	v_pack_b32_f16 v53, v53, v117
	;; [unrolled: 1-line block ×7, first 2 shown]
	ds_write_b32 v88, v59 offset:1600
	ds_write_b32 v88, v56 offset:3200
	ds_write2_b32 v71, v64, v65 offset1:75
	ds_write_b32 v88, v53 offset:1900
	ds_write_b32 v88, v57 offset:3500
	;; [unrolled: 1-line block ×6, first 2 shown]
	v_pack_b32_f16 v56, v52, v115
	v_add_f16_e32 v52, v70, v67
	v_add_f16_e32 v103, v105, v124
	v_fmamk_f16 v53, v104, 0x3aee, v50
	v_fmac_f16_e32 v50, 0xbaee, v104
	v_fmamk_f16 v104, v66, 0xbaee, v102
	v_fmac_f16_e32 v102, 0x3aee, v66
	v_pack_b32_f16 v55, v55, v112
	v_pack_b32_f16 v54, v68, v69
	ds_write_b32 v71, v63 offset:2500
	ds_write_b32 v71, v55 offset:4100
	;; [unrolled: 1-line block ×5, first 2 shown]
	s_and_saveexec_b32 s1, s0
	s_cbranch_execz .LBB0_15
; %bb.14:
	v_perm_b32 v54, v103, v52, 0x5040100
	v_perm_b32 v55, v104, v53, 0x5040100
	;; [unrolled: 1-line block ×3, first 2 shown]
	ds_write_b32 v88, v54 offset:1500
	ds_write_b32 v88, v55 offset:3100
	;; [unrolled: 1-line block ×3, first 2 shown]
.LBB0_15:
	s_or_b32 exec_lo, exec_lo, s1
	v_add_co_u32 v54, s1, 0x12c0, v35
	v_add_co_ci_u32_e64 v55, s1, 0, v36, s1
	s_waitcnt lgkmcnt(0)
	s_barrier
	buffer_gl0_inv
	s_clause 0x1
	global_load_dword v70, v[33:34], off offset:704
	global_load_dword v110, v[54:55], off offset:960
	v_add_co_u32 v56, s1, 0x1800, v35
	v_add_co_ci_u32_e64 v57, s1, 0, v36, s1
	v_add_co_u32 v58, s1, 0x2000, v35
	v_add_co_ci_u32_e64 v59, s1, 0, v36, s1
	s_clause 0xc
	global_load_dword v111, v[54:55], off offset:1920
	global_load_dword v112, v[56:57], off offset:1536
	;; [unrolled: 1-line block ×13, first 2 shown]
	ds_read2_b32 v[59:60], v71 offset1:75
	ds_read2_b32 v[62:63], v71 offset0:150 offset1:240
	v_add_nc_u32_e32 v57, 0x600, v71
	v_add_nc_u32_e32 v58, 0x800, v71
	;; [unrolled: 1-line block ×5, first 2 shown]
	ds_read_b32 v124, v71 offset:4440
	ds_read2_b32 v[64:65], v57 offset0:96 offset1:171
	ds_read2_b32 v[66:67], v58 offset0:118 offset1:208
	;; [unrolled: 1-line block ×5, first 2 shown]
	s_waitcnt lgkmcnt(7)
	v_lshrrev_b32_e32 v125, 16, v59
	v_lshrrev_b32_e32 v127, 16, v60
	s_waitcnt lgkmcnt(6)
	v_lshrrev_b32_e32 v126, 16, v63
	s_waitcnt lgkmcnt(4)
	v_lshrrev_b32_e32 v130, 16, v64
	v_lshrrev_b32_e32 v134, 16, v65
	s_waitcnt lgkmcnt(2)
	v_lshrrev_b32_e32 v132, 16, v68
	v_lshrrev_b32_e32 v136, 16, v69
	;; [unrolled: 1-line block ×3, first 2 shown]
	s_waitcnt lgkmcnt(1)
	v_lshrrev_b32_e32 v133, 16, v106
	v_lshrrev_b32_e32 v139, 16, v107
	;; [unrolled: 1-line block ×4, first 2 shown]
	s_waitcnt lgkmcnt(0)
	v_lshrrev_b32_e32 v135, 16, v108
	v_lshrrev_b32_e32 v140, 16, v66
	;; [unrolled: 1-line block ×3, first 2 shown]
	s_waitcnt vmcnt(12)
	v_mul_f16_sdwa v142, v64, v111 dst_sel:DWORD dst_unused:UNUSED_PAD src0_sel:DWORD src1_sel:WORD_1
	v_mul_f16_sdwa v137, v125, v70 dst_sel:DWORD dst_unused:UNUSED_PAD src0_sel:DWORD src1_sel:WORD_1
	;; [unrolled: 1-line block ×3, first 2 shown]
	s_waitcnt vmcnt(9)
	v_mul_f16_sdwa v147, v127, v114 dst_sel:DWORD dst_unused:UNUSED_PAD src0_sel:DWORD src1_sel:WORD_1
	v_mul_f16_sdwa v148, v60, v114 dst_sel:DWORD dst_unused:UNUSED_PAD src0_sel:DWORD src1_sel:WORD_1
	s_waitcnt vmcnt(7)
	v_mul_f16_sdwa v151, v134, v116 dst_sel:DWORD dst_unused:UNUSED_PAD src0_sel:DWORD src1_sel:WORD_1
	v_fma_f16 v59, v59, v70, -v137
	v_mul_f16_sdwa v137, v130, v111 dst_sel:DWORD dst_unused:UNUSED_PAD src0_sel:DWORD src1_sel:WORD_1
	v_mul_f16_sdwa v152, v65, v116 dst_sel:DWORD dst_unused:UNUSED_PAD src0_sel:DWORD src1_sel:WORD_1
	;; [unrolled: 1-line block ×4, first 2 shown]
	s_waitcnt vmcnt(5)
	v_mul_f16_sdwa v155, v136, v118 dst_sel:DWORD dst_unused:UNUSED_PAD src0_sel:DWORD src1_sel:WORD_1
	v_mul_f16_sdwa v156, v69, v118 dst_sel:DWORD dst_unused:UNUSED_PAD src0_sel:DWORD src1_sel:WORD_1
	v_fmac_f16_e32 v138, v125, v70
	v_mul_f16_sdwa v70, v126, v110 dst_sel:DWORD dst_unused:UNUSED_PAD src0_sel:DWORD src1_sel:WORD_1
	v_mul_f16_sdwa v125, v63, v110 dst_sel:DWORD dst_unused:UNUSED_PAD src0_sel:DWORD src1_sel:WORD_1
	s_waitcnt vmcnt(4)
	v_mul_f16_sdwa v157, v128, v119 dst_sel:DWORD dst_unused:UNUSED_PAD src0_sel:DWORD src1_sel:WORD_1
	v_mul_f16_sdwa v158, v62, v119 dst_sel:DWORD dst_unused:UNUSED_PAD src0_sel:DWORD src1_sel:WORD_1
	;; [unrolled: 1-line block ×4, first 2 shown]
	s_waitcnt vmcnt(3)
	v_mul_f16_sdwa v159, v139, v120 dst_sel:DWORD dst_unused:UNUSED_PAD src0_sel:DWORD src1_sel:WORD_1
	v_mul_f16_sdwa v160, v107, v120 dst_sel:DWORD dst_unused:UNUSED_PAD src0_sel:DWORD src1_sel:WORD_1
	;; [unrolled: 1-line block ×6, first 2 shown]
	s_waitcnt vmcnt(2)
	v_mul_f16_sdwa v161, v140, v121 dst_sel:DWORD dst_unused:UNUSED_PAD src0_sel:DWORD src1_sel:WORD_1
	v_mul_f16_sdwa v162, v66, v121 dst_sel:DWORD dst_unused:UNUSED_PAD src0_sel:DWORD src1_sel:WORD_1
	s_waitcnt vmcnt(1)
	v_mul_f16_sdwa v163, v141, v122 dst_sel:DWORD dst_unused:UNUSED_PAD src0_sel:DWORD src1_sel:WORD_1
	v_mul_f16_sdwa v164, v109, v122 dst_sel:DWORD dst_unused:UNUSED_PAD src0_sel:DWORD src1_sel:WORD_1
	;; [unrolled: 3-line block ×3, first 2 shown]
	v_fma_f16 v60, v60, v114, -v147
	v_fmac_f16_e32 v148, v127, v114
	v_fma_f16 v64, v64, v111, -v137
	v_fmac_f16_e32 v142, v130, v111
	;; [unrolled: 2-line block ×9, first 2 shown]
	v_pack_b32_f16 v59, v59, v138
	v_fma_f16 v67, v67, v112, -v143
	v_fmac_f16_e32 v144, v131, v112
	v_fma_f16 v106, v108, v117, -v153
	v_fmac_f16_e32 v154, v135, v117
	v_fma_f16 v66, v66, v121, -v161
	v_fmac_f16_e32 v162, v140, v121
	v_fma_f16 v108, v109, v122, -v163
	v_fmac_f16_e32 v164, v141, v122
	v_fma_f16 v109, v124, v123, -v165
	v_fmac_f16_e32 v166, v129, v123
	v_pack_b32_f16 v60, v60, v148
	v_pack_b32_f16 v64, v64, v142
	;; [unrolled: 1-line block ×14, first 2 shown]
	ds_write2_b32 v71, v59, v60 offset1:75
	ds_write2_b32 v57, v64, v65 offset0:96 offset1:171
	ds_write2_b32 v61, v68, v69 offset0:64 offset1:139
	ds_write2_b32 v71, v62, v63 offset0:150 offset1:240
	ds_write2_b32 v56, v70, v107 offset0:59 offset1:134
	ds_write2_b32 v58, v66, v67 offset0:118 offset1:208
	ds_write2_b32 v105, v106, v108 offset0:27 offset1:102
	ds_write_b32 v71, v109 offset:4440
	s_and_saveexec_b32 s2, vcc_lo
	s_cbranch_execz .LBB0_17
; %bb.16:
	s_clause 0x1
	global_load_dword v62, v[54:55], off offset:900
	global_load_dword v63, v[54:55], off offset:1860
	v_add_co_u32 v59, s1, 0x800, v54
	v_add_co_ci_u32_e64 v60, s1, 0, v55, s1
	v_add_co_u32 v54, s1, 0x1000, v54
	v_add_co_ci_u32_e64 v55, s1, 0, v55, s1
	s_clause 0x2
	global_load_dword v64, v[59:60], off offset:772
	global_load_dword v65, v[59:60], off offset:1732
	;; [unrolled: 1-line block ×3, first 2 shown]
	ds_read_b32 v54, v88 offset:900
	v_add_nc_u32_e32 v67, 0xec0, v71
	s_waitcnt lgkmcnt(0)
	v_lshrrev_b32_e32 v55, 16, v54
	s_waitcnt vmcnt(4)
	v_mul_f16_sdwa v59, v55, v62 dst_sel:DWORD dst_unused:UNUSED_PAD src0_sel:DWORD src1_sel:WORD_1
	v_mul_f16_sdwa v60, v54, v62 dst_sel:DWORD dst_unused:UNUSED_PAD src0_sel:DWORD src1_sel:WORD_1
	v_fma_f16 v54, v54, v62, -v59
	v_fmac_f16_e32 v60, v55, v62
	v_add_nc_u32_e32 v62, 0x740, v71
	v_pack_b32_f16 v54, v54, v60
	ds_write_b32 v88, v54 offset:900
	ds_read2_b32 v[54:55], v62 offset0:1 offset1:241
	ds_read2_b32 v[59:60], v67 offset0:1 offset1:241
	s_waitcnt lgkmcnt(1)
	v_lshrrev_b32_e32 v68, 16, v54
	s_waitcnt vmcnt(3)
	v_mul_f16_sdwa v69, v54, v63 dst_sel:DWORD dst_unused:UNUSED_PAD src0_sel:DWORD src1_sel:WORD_1
	v_lshrrev_b32_e32 v70, 16, v55
	s_waitcnt vmcnt(2)
	v_mul_f16_sdwa v106, v55, v64 dst_sel:DWORD dst_unused:UNUSED_PAD src0_sel:DWORD src1_sel:WORD_1
	s_waitcnt lgkmcnt(0)
	v_lshrrev_b32_e32 v107, 16, v59
	s_waitcnt vmcnt(1)
	v_mul_f16_sdwa v108, v59, v65 dst_sel:DWORD dst_unused:UNUSED_PAD src0_sel:DWORD src1_sel:WORD_1
	v_lshrrev_b32_e32 v109, 16, v60
	v_mul_f16_sdwa v111, v68, v63 dst_sel:DWORD dst_unused:UNUSED_PAD src0_sel:DWORD src1_sel:WORD_1
	v_fmac_f16_e32 v69, v68, v63
	v_mul_f16_sdwa v68, v70, v64 dst_sel:DWORD dst_unused:UNUSED_PAD src0_sel:DWORD src1_sel:WORD_1
	s_waitcnt vmcnt(0)
	v_mul_f16_sdwa v110, v60, v66 dst_sel:DWORD dst_unused:UNUSED_PAD src0_sel:DWORD src1_sel:WORD_1
	v_fmac_f16_e32 v106, v70, v64
	v_mul_f16_sdwa v70, v107, v65 dst_sel:DWORD dst_unused:UNUSED_PAD src0_sel:DWORD src1_sel:WORD_1
	v_fmac_f16_e32 v108, v107, v65
	v_mul_f16_sdwa v107, v109, v66 dst_sel:DWORD dst_unused:UNUSED_PAD src0_sel:DWORD src1_sel:WORD_1
	v_fma_f16 v54, v54, v63, -v111
	v_fma_f16 v55, v55, v64, -v68
	v_fmac_f16_e32 v110, v109, v66
	v_fma_f16 v59, v59, v65, -v70
	v_fma_f16 v60, v60, v66, -v107
	v_pack_b32_f16 v54, v54, v69
	v_pack_b32_f16 v55, v55, v106
	;; [unrolled: 1-line block ×4, first 2 shown]
	ds_write2_b32 v62, v54, v55 offset0:1 offset1:241
	ds_write2_b32 v67, v59, v60 offset0:1 offset1:241
.LBB0_17:
	s_or_b32 exec_lo, exec_lo, s2
	s_waitcnt lgkmcnt(0)
	s_barrier
	buffer_gl0_inv
	ds_read2_b32 v[69:70], v71 offset1:75
	ds_read2_b32 v[63:64], v71 offset0:150 offset1:240
	ds_read2_b32 v[67:68], v57 offset0:96 offset1:171
	;; [unrolled: 1-line block ×6, first 2 shown]
	ds_read_b32 v108, v71 offset:4440
	s_and_saveexec_b32 s1, vcc_lo
	s_cbranch_execz .LBB0_19
; %bb.18:
	v_add_nc_u32_e32 v50, 0x380, v88
	v_add_nc_u32_e32 v51, 0xb00, v88
	ds_read2_b32 v[52:53], v50 offset0:1 offset1:241
	ds_read2_b32 v[50:51], v51 offset0:1 offset1:241
	ds_read_b32 v101, v88 offset:4740
	s_waitcnt lgkmcnt(2)
	v_lshrrev_b32_e32 v103, 16, v52
	v_lshrrev_b32_e32 v104, 16, v53
	s_waitcnt lgkmcnt(1)
	v_lshrrev_b32_e32 v102, 16, v50
	v_lshrrev_b32_e32 v100, 16, v51
	s_waitcnt lgkmcnt(0)
	v_lshrrev_b32_e32 v99, 16, v101
.LBB0_19:
	s_or_b32 exec_lo, exec_lo, s1
	v_add_f16_e32 v54, v50, v51
	v_add_f16_e32 v55, v53, v52
	v_sub_f16_e32 v106, v104, v99
	v_add_f16_e32 v58, v53, v101
	v_sub_f16_e32 v107, v102, v100
	v_fma_f16 v105, -0.5, v54, v52
	v_add_f16_e32 v111, v50, v55
	v_sub_f16_e32 v54, v53, v50
	v_sub_f16_e32 v112, v101, v51
	v_fmac_f16_e32 v52, -0.5, v58
	v_fmamk_f16 v55, v106, 0xbb9c, v105
	v_add_f16_e32 v111, v51, v111
	v_fmac_f16_e32 v105, 0x3b9c, v106
	v_sub_f16_e32 v114, v50, v53
	v_sub_f16_e32 v115, v51, v101
	v_fmac_f16_e32 v55, 0xb8b4, v107
	v_add_f16_e32 v112, v54, v112
	v_fmamk_f16 v58, v107, 0x3b9c, v52
	v_add_f16_e32 v54, v101, v111
	v_fmac_f16_e32 v105, 0x38b4, v107
	v_add_f16_e32 v111, v114, v115
	v_fmac_f16_e32 v52, 0xbb9c, v107
	;; [unrolled: 2-line block ×3, first 2 shown]
	v_fmac_f16_e32 v58, 0xb8b4, v106
	v_add_f16_e32 v107, v104, v103
	v_fmac_f16_e32 v105, 0x34f2, v112
	v_fmac_f16_e32 v52, 0x38b4, v106
	v_fma_f16 v106, -0.5, v114, v103
	v_add_f16_e32 v112, v104, v99
	v_sub_f16_e32 v114, v53, v101
	v_fmac_f16_e32 v58, 0x34f2, v111
	v_add_f16_e32 v107, v102, v107
	v_fmac_f16_e32 v52, 0x34f2, v111
	v_sub_f16_e32 v50, v50, v51
	v_fmac_f16_e32 v103, -0.5, v112
	v_fmamk_f16 v101, v114, 0x3b9c, v106
	v_sub_f16_e32 v51, v104, v102
	v_sub_f16_e32 v111, v99, v100
	v_fmac_f16_e32 v106, 0xbb9c, v114
	v_add_f16_e32 v53, v100, v107
	v_fmamk_f16 v107, v50, 0xbb9c, v103
	v_sub_f16_e32 v102, v102, v104
	v_sub_f16_e32 v100, v100, v99
	v_fmac_f16_e32 v101, 0x38b4, v50
	v_add_f16_e32 v51, v51, v111
	v_fmac_f16_e32 v106, 0xb8b4, v50
	v_fmac_f16_e32 v103, 0x3b9c, v50
	s_waitcnt lgkmcnt(6)
	v_pk_add_f16 v109, v69, v64
	v_fmac_f16_e32 v107, 0x38b4, v114
	v_add_f16_e32 v100, v102, v100
	v_fmac_f16_e32 v101, 0x34f2, v51
	v_fmac_f16_e32 v106, 0x34f2, v51
	;; [unrolled: 1-line block ×3, first 2 shown]
	s_waitcnt lgkmcnt(4)
	v_pk_add_f16 v50, v67, v60
	s_waitcnt lgkmcnt(3)
	v_pk_add_f16 v51, v64, v65 neg_lo:[0,1] neg_hi:[0,1]
	v_add_f16_e32 v53, v99, v53
	v_fmac_f16_e32 v107, 0x34f2, v100
	v_pk_add_f16 v99, v109, v67
	v_pk_add_f16 v102, v67, v60 neg_lo:[0,1] neg_hi:[0,1]
	v_fmac_f16_e32 v103, 0x34f2, v100
	v_pk_fma_f16 v50, v50, 0.5, v69 op_sel_hi:[1,0,1] neg_lo:[1,0,0] neg_hi:[1,0,0]
	v_pk_mul_f16 v100, 0x3b9c, v51 op_sel_hi:[0,1]
	v_pk_add_f16 v109, v64, v65
	v_pk_mul_f16 v104, 0x38b4, v102 op_sel_hi:[0,1]
	v_pk_mul_f16 v102, 0x3b9c, v102 op_sel_hi:[0,1]
	v_pk_add_f16 v111, v64, v67 neg_lo:[0,1] neg_hi:[0,1]
	v_pk_add_f16 v112, v50, v100 op_sel:[0,1] op_sel_hi:[1,0] neg_lo:[0,1] neg_hi:[0,1]
	v_pk_add_f16 v50, v50, v100 op_sel:[0,1] op_sel_hi:[1,0]
	v_pk_fma_f16 v69, v109, 0.5, v69 op_sel_hi:[1,0,1] neg_lo:[1,0,0] neg_hi:[1,0,0]
	v_pk_add_f16 v100, v65, v60 neg_lo:[0,1] neg_hi:[0,1]
	v_pk_mul_f16 v51, 0x38b4, v51 op_sel_hi:[0,1]
	v_pk_add_f16 v109, v112, v104 op_sel:[0,1] op_sel_hi:[1,0] neg_lo:[0,1] neg_hi:[0,1]
	v_pk_add_f16 v50, v50, v104 op_sel:[0,1] op_sel_hi:[1,0]
	v_pk_add_f16 v104, v69, v102 op_sel:[0,1] op_sel_hi:[1,0]
	v_pk_add_f16 v69, v69, v102 op_sel:[0,1] op_sel_hi:[1,0] neg_lo:[0,1] neg_hi:[0,1]
	v_pk_add_f16 v99, v99, v60
	v_pk_add_f16 v100, v111, v100
	v_bfi_b32 v102, 0xffff, v109, v50
	v_pk_add_f16 v64, v67, v64 neg_lo:[0,1] neg_hi:[0,1]
	v_pk_add_f16 v60, v60, v65 neg_lo:[0,1] neg_hi:[0,1]
	v_pk_add_f16 v67, v104, v51 op_sel:[0,1] op_sel_hi:[1,0] neg_lo:[0,1] neg_hi:[0,1]
	v_pk_add_f16 v51, v69, v51 op_sel:[0,1] op_sel_hi:[1,0]
	v_pk_add_f16 v65, v99, v65
	v_pk_fma_f16 v69, 0x34f2, v100, v102 op_sel_hi:[0,1,1]
	v_pk_add_f16 v60, v64, v60
	s_waitcnt lgkmcnt(0)
	v_bfi_b32 v64, 0xffff, v67, v51
	v_bfi_b32 v51, 0xffff, v51, v67
	s_barrier
	buffer_gl0_inv
	ds_write2_b32 v91, v65, v69 offset1:1
	v_pk_fma_f16 v64, 0x34f2, v60, v64 op_sel_hi:[0,1,1]
	v_pk_fma_f16 v51, 0x34f2, v60, v51 op_sel_hi:[0,1,1]
	v_pk_add_f16 v60, v68, v56
	v_pk_add_f16 v65, v61, v66 neg_lo:[0,1] neg_hi:[0,1]
	v_bfi_b32 v50, 0xffff, v50, v109
	v_pk_add_f16 v69, v68, v56 neg_lo:[0,1] neg_hi:[0,1]
	v_pk_add_f16 v102, v61, v66
	v_pk_fma_f16 v60, v60, 0.5, v70 op_sel_hi:[1,0,1] neg_lo:[1,0,0] neg_hi:[1,0,0]
	v_pk_mul_f16 v99, 0x3b9c, v65 op_sel_hi:[0,1]
	v_pk_add_f16 v110, v70, v61
	v_pk_fma_f16 v50, 0x34f2, v100, v50 op_sel_hi:[0,1,1]
	v_pk_mul_f16 v100, 0x38b4, v69 op_sel_hi:[0,1]
	v_pk_fma_f16 v70, v102, 0.5, v70 op_sel_hi:[1,0,1] neg_lo:[1,0,0] neg_hi:[1,0,0]
	v_pk_add_f16 v109, v60, v99 op_sel:[0,1] op_sel_hi:[1,0] neg_lo:[0,1] neg_hi:[0,1]
	v_pk_add_f16 v60, v60, v99 op_sel:[0,1] op_sel_hi:[1,0]
	v_pk_mul_f16 v69, 0x3b9c, v69 op_sel_hi:[0,1]
	v_pk_add_f16 v67, v110, v68
	v_pk_add_f16 v104, v61, v68 neg_lo:[0,1] neg_hi:[0,1]
	v_pk_add_f16 v99, v66, v56 neg_lo:[0,1] neg_hi:[0,1]
	v_pk_add_f16 v102, v109, v100 op_sel:[0,1] op_sel_hi:[1,0] neg_lo:[0,1] neg_hi:[0,1]
	v_pk_add_f16 v60, v60, v100 op_sel:[0,1] op_sel_hi:[1,0]
	v_pk_mul_f16 v65, 0x38b4, v65 op_sel_hi:[0,1]
	v_pk_add_f16 v100, v70, v69 op_sel:[0,1] op_sel_hi:[1,0]
	v_pk_add_f16 v69, v70, v69 op_sel:[0,1] op_sel_hi:[1,0] neg_lo:[0,1] neg_hi:[0,1]
	v_pk_add_f16 v67, v67, v56
	v_pk_add_f16 v99, v104, v99
	v_bfi_b32 v70, 0xffff, v102, v60
	v_pk_add_f16 v61, v68, v61 neg_lo:[0,1] neg_hi:[0,1]
	v_pk_add_f16 v56, v56, v66 neg_lo:[0,1] neg_hi:[0,1]
	v_pk_add_f16 v68, v100, v65 op_sel:[0,1] op_sel_hi:[1,0] neg_lo:[0,1] neg_hi:[0,1]
	v_pk_add_f16 v65, v69, v65 op_sel:[0,1] op_sel_hi:[1,0]
	v_pk_add_f16 v66, v67, v66
	v_pk_fma_f16 v67, 0x34f2, v99, v70 op_sel_hi:[0,1,1]
	ds_write2_b32 v91, v64, v51 offset0:2 offset1:3
	v_pk_add_f16 v51, v61, v56
	v_bfi_b32 v56, 0xffff, v68, v65
	ds_write_b32 v91, v50 offset:16
	ds_write2_b32 v90, v66, v67 offset1:1
	v_bfi_b32 v50, 0xffff, v65, v68
	v_bfi_b32 v60, 0xffff, v60, v102
	v_pk_add_f16 v61, v59, v57
	v_pk_add_f16 v64, v62, v108 neg_lo:[0,1] neg_hi:[0,1]
	v_pk_fma_f16 v56, 0x34f2, v51, v56 op_sel_hi:[0,1,1]
	v_pk_fma_f16 v50, 0x34f2, v51, v50 op_sel_hi:[0,1,1]
	;; [unrolled: 1-line block ×3, first 2 shown]
	v_pk_add_f16 v60, v59, v57 neg_lo:[0,1] neg_hi:[0,1]
	v_pk_fma_f16 v61, v61, 0.5, v63 op_sel_hi:[1,0,1] neg_lo:[1,0,0] neg_hi:[1,0,0]
	v_pk_mul_f16 v65, 0x3b9c, v64 op_sel_hi:[0,1]
	v_pk_add_f16 v66, v62, v108
	v_pk_add_f16 v113, v63, v62
	v_pk_mul_f16 v68, 0x38b4, v60 op_sel_hi:[0,1]
	v_pk_mul_f16 v60, 0x3b9c, v60 op_sel_hi:[0,1]
	v_pk_add_f16 v70, v61, v65 op_sel:[0,1] op_sel_hi:[1,0] neg_lo:[0,1] neg_hi:[0,1]
	v_pk_fma_f16 v63, v66, 0.5, v63 op_sel_hi:[1,0,1] neg_lo:[1,0,0] neg_hi:[1,0,0]
	v_pk_add_f16 v61, v61, v65 op_sel:[0,1] op_sel_hi:[1,0]
	v_pk_mul_f16 v64, 0x38b4, v64 op_sel_hi:[0,1]
	v_pk_add_f16 v67, v113, v59
	v_pk_add_f16 v65, v70, v68 op_sel:[0,1] op_sel_hi:[1,0] neg_lo:[0,1] neg_hi:[0,1]
	v_pk_add_f16 v70, v63, v60 op_sel:[0,1] op_sel_hi:[1,0]
	v_pk_add_f16 v60, v63, v60 op_sel:[0,1] op_sel_hi:[1,0] neg_lo:[0,1] neg_hi:[0,1]
	v_pk_add_f16 v69, v62, v59 neg_lo:[0,1] neg_hi:[0,1]
	v_pk_add_f16 v66, v108, v57 neg_lo:[0,1] neg_hi:[0,1]
	v_pk_add_f16 v61, v61, v68 op_sel:[0,1] op_sel_hi:[1,0]
	v_pk_add_f16 v59, v59, v62 neg_lo:[0,1] neg_hi:[0,1]
	v_pk_add_f16 v62, v57, v108 neg_lo:[0,1] neg_hi:[0,1]
	v_pk_add_f16 v63, v70, v64 op_sel:[0,1] op_sel_hi:[1,0] neg_lo:[0,1] neg_hi:[0,1]
	v_pk_add_f16 v60, v60, v64 op_sel:[0,1] op_sel_hi:[1,0]
	v_pk_add_f16 v57, v67, v57
	v_pk_add_f16 v64, v69, v66
	v_bfi_b32 v66, 0xffff, v65, v61
	v_pk_add_f16 v59, v59, v62
	v_bfi_b32 v62, 0xffff, v63, v60
	v_bfi_b32 v60, 0xffff, v60, v63
	;; [unrolled: 1-line block ×3, first 2 shown]
	v_pk_add_f16 v57, v57, v108
	v_pk_fma_f16 v63, 0x34f2, v64, v66 op_sel_hi:[0,1,1]
	v_pk_fma_f16 v62, 0x34f2, v59, v62 op_sel_hi:[0,1,1]
	;; [unrolled: 1-line block ×4, first 2 shown]
	ds_write2_b32 v90, v56, v50 offset0:2 offset1:3
	ds_write_b32 v90, v51 offset:16
	ds_write2_b32 v92, v57, v63 offset1:1
	ds_write2_b32 v92, v62, v59 offset0:2 offset1:3
	ds_write_b32 v92, v60 offset:16
	s_and_saveexec_b32 s1, vcc_lo
	s_cbranch_execz .LBB0_21
; %bb.20:
	v_lshl_add_u32 v50, v93, 2, v89
	v_perm_b32 v51, v101, v55, 0x5040100
	v_perm_b32 v56, v53, v54, 0x5040100
	;; [unrolled: 1-line block ×5, first 2 shown]
	ds_write2_b32 v50, v56, v51 offset1:1
	ds_write2_b32 v50, v59, v57 offset0:2 offset1:3
	ds_write_b32 v50, v60 offset:16
.LBB0_21:
	s_or_b32 exec_lo, exec_lo, s1
	v_add_nc_u32_e32 v59, 0x600, v71
	v_add_nc_u32_e32 v60, 0x800, v71
	;; [unrolled: 1-line block ×5, first 2 shown]
	s_waitcnt lgkmcnt(0)
	s_barrier
	buffer_gl0_inv
	ds_read2_b32 v[56:57], v71 offset1:75
	ds_read2_b32 v[50:51], v71 offset0:150 offset1:240
	ds_read2_b32 v[68:69], v59 offset0:96 offset1:171
	;; [unrolled: 1-line block ×6, first 2 shown]
	ds_read_b32 v91, v71 offset:4440
	s_and_saveexec_b32 s1, vcc_lo
	s_cbranch_execz .LBB0_23
; %bb.22:
	v_add_nc_u32_e32 v52, 0x380, v71
	v_add_nc_u32_e32 v53, 0xb00, v71
	ds_read_b32 v105, v71 offset:4740
	ds_read2_b32 v[54:55], v52 offset0:1 offset1:241
	ds_read2_b32 v[58:59], v53 offset0:1 offset1:241
	s_waitcnt lgkmcnt(2)
	v_lshrrev_b32_e32 v106, 16, v105
	s_waitcnt lgkmcnt(1)
	v_lshrrev_b32_e32 v53, 16, v54
	v_lshrrev_b32_e32 v101, 16, v55
	s_waitcnt lgkmcnt(0)
	v_lshrrev_b32_e32 v107, 16, v58
	v_lshrrev_b32_e32 v103, 16, v59
	v_mov_b32_e32 v52, v59
.LBB0_23:
	s_or_b32 exec_lo, exec_lo, s1
	s_waitcnt lgkmcnt(6)
	v_lshrrev_b32_e32 v92, 16, v51
	s_waitcnt lgkmcnt(5)
	v_lshrrev_b32_e32 v93, 16, v68
	;; [unrolled: 2-line block ×4, first 2 shown]
	v_mul_f16_sdwa v113, v12, v51 dst_sel:DWORD dst_unused:UNUSED_PAD src0_sel:WORD_1 src1_sel:DWORD
	v_mul_f16_sdwa v112, v12, v92 dst_sel:DWORD dst_unused:UNUSED_PAD src0_sel:WORD_1 src1_sel:DWORD
	;; [unrolled: 1-line block ×3, first 2 shown]
	s_waitcnt lgkmcnt(2)
	v_lshrrev_b32_e32 v102, 16, v64
	v_lshrrev_b32_e32 v104, 16, v69
	s_waitcnt lgkmcnt(1)
	v_lshrrev_b32_e32 v108, 16, v62
	v_fmac_f16_e32 v112, v12, v51
	v_fma_f16 v12, v12, v92, -v113
	v_fmac_f16_e32 v114, v13, v68
	v_mul_f16_sdwa v51, v13, v68 dst_sel:DWORD dst_unused:UNUSED_PAD src0_sel:WORD_1 src1_sel:DWORD
	v_mul_f16_sdwa v68, v14, v99 dst_sel:DWORD dst_unused:UNUSED_PAD src0_sel:WORD_1 src1_sel:DWORD
	;; [unrolled: 1-line block ×3, first 2 shown]
	v_lshrrev_b32_e32 v109, 16, v67
	v_lshrrev_b32_e32 v110, 16, v65
	v_mul_f16_sdwa v92, v14, v61 dst_sel:DWORD dst_unused:UNUSED_PAD src0_sel:WORD_1 src1_sel:DWORD
	v_mul_f16_sdwa v117, v15, v66 dst_sel:DWORD dst_unused:UNUSED_PAD src0_sel:WORD_1 src1_sel:DWORD
	v_fma_f16 v13, v13, v93, -v51
	v_fmac_f16_e32 v68, v14, v61
	v_fmac_f16_e32 v113, v15, v66
	v_mul_f16_sdwa v51, v8, v102 dst_sel:DWORD dst_unused:UNUSED_PAD src0_sel:WORD_1 src1_sel:DWORD
	v_mul_f16_sdwa v61, v8, v64 dst_sel:DWORD dst_unused:UNUSED_PAD src0_sel:WORD_1 src1_sel:DWORD
	;; [unrolled: 1-line block ×4, first 2 shown]
	v_lshrrev_b32_e32 v115, 16, v63
	v_fma_f16 v14, v14, v99, -v92
	v_mul_f16_sdwa v92, v9, v69 dst_sel:DWORD dst_unused:UNUSED_PAD src0_sel:WORD_1 src1_sel:DWORD
	v_fmac_f16_e32 v51, v8, v64
	v_fma_f16 v8, v8, v102, -v61
	v_fmac_f16_e32 v66, v9, v69
	v_fmac_f16_e32 v93, v10, v62
	v_mul_f16_sdwa v61, v10, v62 dst_sel:DWORD dst_unused:UNUSED_PAD src0_sel:WORD_1 src1_sel:DWORD
	v_mul_f16_sdwa v62, v11, v109 dst_sel:DWORD dst_unused:UNUSED_PAD src0_sel:WORD_1 src1_sel:DWORD
	;; [unrolled: 1-line block ×3, first 2 shown]
	v_lshrrev_b32_e32 v111, 16, v60
	s_waitcnt lgkmcnt(0)
	v_lshrrev_b32_e32 v116, 16, v91
	v_fma_f16 v9, v9, v104, -v92
	v_mul_f16_sdwa v64, v11, v67 dst_sel:DWORD dst_unused:UNUSED_PAD src0_sel:WORD_1 src1_sel:DWORD
	v_mul_f16_sdwa v92, v4, v65 dst_sel:DWORD dst_unused:UNUSED_PAD src0_sel:WORD_1 src1_sel:DWORD
	v_fmac_f16_e32 v62, v11, v67
	v_fmac_f16_e32 v69, v4, v65
	v_mul_f16_sdwa v65, v6, v115 dst_sel:DWORD dst_unused:UNUSED_PAD src0_sel:WORD_1 src1_sel:DWORD
	v_mul_f16_sdwa v67, v6, v63 dst_sel:DWORD dst_unused:UNUSED_PAD src0_sel:WORD_1 src1_sel:DWORD
	v_fma_f16 v10, v10, v108, -v61
	v_fma_f16 v11, v11, v109, -v64
	;; [unrolled: 1-line block ×3, first 2 shown]
	v_mul_f16_sdwa v64, v5, v111 dst_sel:DWORD dst_unused:UNUSED_PAD src0_sel:WORD_1 src1_sel:DWORD
	v_mul_f16_sdwa v4, v5, v60 dst_sel:DWORD dst_unused:UNUSED_PAD src0_sel:WORD_1 src1_sel:DWORD
	v_mul_f16_sdwa v92, v7, v116 dst_sel:DWORD dst_unused:UNUSED_PAD src0_sel:WORD_1 src1_sel:DWORD
	v_fmac_f16_e32 v65, v6, v63
	v_fma_f16 v63, v6, v115, -v67
	v_mul_f16_sdwa v6, v7, v91 dst_sel:DWORD dst_unused:UNUSED_PAD src0_sel:WORD_1 src1_sel:DWORD
	v_mul_f16_sdwa v67, v0, v55 dst_sel:DWORD dst_unused:UNUSED_PAD src0_sel:WORD_1 src1_sel:DWORD
	v_fmac_f16_e32 v64, v5, v60
	v_fma_f16 v60, v5, v111, -v4
	v_fmac_f16_e32 v92, v7, v91
	v_mul_f16_sdwa v5, v1, v107 dst_sel:DWORD dst_unused:UNUSED_PAD src0_sel:WORD_1 src1_sel:DWORD
	v_fma_f16 v99, v7, v116, -v6
	v_fma_f16 v6, v0, v101, -v67
	v_mul_f16_sdwa v7, v2, v103 dst_sel:DWORD dst_unused:UNUSED_PAD src0_sel:WORD_1 src1_sel:DWORD
	v_add_f16_e32 v67, v56, v112
	v_mul_f16_sdwa v4, v0, v101 dst_sel:DWORD dst_unused:UNUSED_PAD src0_sel:WORD_1 src1_sel:DWORD
	v_mul_f16_sdwa v91, v1, v58 dst_sel:DWORD dst_unused:UNUSED_PAD src0_sel:WORD_1 src1_sel:DWORD
	v_fmac_f16_e32 v5, v1, v58
	v_mul_f16_sdwa v58, v2, v52 dst_sel:DWORD dst_unused:UNUSED_PAD src0_sel:WORD_1 src1_sel:DWORD
	v_fmac_f16_e32 v7, v2, v52
	v_add_f16_e32 v52, v67, v114
	v_lshrrev_b32_e32 v90, 16, v56
	v_fma_f16 v15, v15, v100, -v117
	v_fmac_f16_e32 v4, v0, v55
	v_add_f16_e32 v55, v114, v68
	v_sub_f16_e32 v100, v112, v114
	v_sub_f16_e32 v101, v113, v68
	v_add_f16_e32 v102, v112, v113
	v_add_f16_e32 v52, v52, v68
	v_fma_f16 v1, v1, v107, -v91
	v_mul_f16_sdwa v0, v3, v106 dst_sel:DWORD dst_unused:UNUSED_PAD src0_sel:WORD_1 src1_sel:DWORD
	v_fma_f16 v91, -0.5, v55, v56
	v_sub_f16_e32 v55, v12, v15
	v_fma_f16 v2, v2, v103, -v58
	v_sub_f16_e32 v58, v13, v14
	v_mul_f16_sdwa v103, v3, v105 dst_sel:DWORD dst_unused:UNUSED_PAD src0_sel:WORD_1 src1_sel:DWORD
	v_add_f16_e32 v100, v100, v101
	v_fma_f16 v101, -0.5, v102, v56
	v_add_f16_e32 v102, v52, v113
	v_sub_f16_e32 v52, v114, v112
	v_sub_f16_e32 v56, v68, v113
	v_add_f16_e32 v104, v90, v12
	v_fmac_f16_e32 v0, v3, v105
	v_fmamk_f16 v67, v55, 0xbb9c, v91
	v_fma_f16 v3, v3, v106, -v103
	v_fmac_f16_e32 v91, 0x3b9c, v55
	v_fmamk_f16 v103, v58, 0x3b9c, v101
	v_add_f16_e32 v105, v13, v14
	v_add_f16_e32 v52, v52, v56
	v_fmac_f16_e32 v101, 0xbb9c, v58
	v_add_f16_e32 v56, v104, v13
	v_fmac_f16_e32 v67, 0xb8b4, v58
	v_fmac_f16_e32 v91, 0x38b4, v58
	v_fmac_f16_e32 v103, 0xb8b4, v55
	v_fma_f16 v104, -0.5, v105, v90
	v_sub_f16_e32 v58, v112, v113
	v_fmac_f16_e32 v101, 0x38b4, v55
	v_add_f16_e32 v55, v56, v14
	v_add_f16_e32 v56, v12, v15
	v_sub_f16_e32 v105, v12, v13
	v_sub_f16_e32 v12, v13, v12
	;; [unrolled: 1-line block ×3, first 2 shown]
	v_fmac_f16_e32 v67, 0x34f2, v100
	v_fmac_f16_e32 v91, 0x34f2, v100
	v_fmamk_f16 v100, v58, 0x3b9c, v104
	v_sub_f16_e32 v68, v114, v68
	v_sub_f16_e32 v106, v15, v14
	v_fmac_f16_e32 v90, -0.5, v56
	v_fmac_f16_e32 v104, 0xbb9c, v58
	v_add_f16_e32 v14, v66, v93
	v_add_f16_e32 v12, v12, v13
	;; [unrolled: 1-line block ×3, first 2 shown]
	v_fmac_f16_e32 v103, 0x34f2, v52
	v_fmac_f16_e32 v101, 0x34f2, v52
	;; [unrolled: 1-line block ×3, first 2 shown]
	v_add_f16_e32 v52, v105, v106
	v_fmamk_f16 v105, v68, 0xbb9c, v90
	v_fmac_f16_e32 v104, 0xb8b4, v68
	v_fma_f16 v106, -0.5, v14, v57
	v_sub_f16_e32 v14, v8, v11
	v_fmac_f16_e32 v90, 0x3b9c, v68
	v_add_f16_e32 v13, v13, v66
	v_add_f16_e32 v56, v51, v62
	v_lshrrev_b32_e32 v70, 16, v57
	v_add_f16_e32 v107, v55, v15
	v_fmac_f16_e32 v100, 0x34f2, v52
	v_fmac_f16_e32 v105, 0x38b4, v58
	;; [unrolled: 1-line block ×3, first 2 shown]
	v_fmamk_f16 v68, v14, 0xbb9c, v106
	v_sub_f16_e32 v15, v9, v10
	v_sub_f16_e32 v52, v51, v66
	;; [unrolled: 1-line block ×3, first 2 shown]
	v_fmac_f16_e32 v90, 0xb8b4, v58
	v_add_f16_e32 v13, v13, v93
	v_fmac_f16_e32 v57, -0.5, v56
	v_fmac_f16_e32 v106, 0x3b9c, v14
	v_fmac_f16_e32 v105, 0x34f2, v12
	v_fmac_f16_e32 v68, 0xb8b4, v15
	v_add_f16_e32 v52, v52, v55
	v_fmac_f16_e32 v90, 0x34f2, v12
	v_add_f16_e32 v108, v13, v62
	v_fmamk_f16 v109, v15, 0x3b9c, v57
	v_sub_f16_e32 v12, v66, v51
	v_sub_f16_e32 v13, v93, v62
	v_fmac_f16_e32 v106, 0x38b4, v15
	v_add_f16_e32 v55, v70, v8
	v_add_f16_e32 v56, v9, v10
	v_fmac_f16_e32 v57, 0xbb9c, v15
	v_fmac_f16_e32 v68, 0x34f2, v52
	;; [unrolled: 1-line block ×3, first 2 shown]
	v_add_f16_e32 v12, v12, v13
	v_add_f16_e32 v13, v55, v9
	v_fma_f16 v110, -0.5, v56, v70
	v_sub_f16_e32 v15, v51, v62
	v_fmac_f16_e32 v106, 0x34f2, v52
	v_fmac_f16_e32 v57, 0x38b4, v14
	v_add_f16_e32 v14, v8, v11
	v_sub_f16_e32 v52, v8, v9
	v_sub_f16_e32 v8, v9, v8
	;; [unrolled: 1-line block ×3, first 2 shown]
	v_add_f16_e32 v13, v13, v10
	v_fmamk_f16 v111, v15, 0x3b9c, v110
	v_sub_f16_e32 v51, v66, v93
	v_sub_f16_e32 v55, v11, v10
	v_fmac_f16_e32 v70, -0.5, v14
	v_fmac_f16_e32 v110, 0xbb9c, v15
	v_add_f16_e32 v10, v64, v65
	v_add_f16_e32 v8, v8, v9
	;; [unrolled: 1-line block ×3, first 2 shown]
	v_fmac_f16_e32 v109, 0x34f2, v12
	v_fmac_f16_e32 v57, 0x34f2, v12
	;; [unrolled: 1-line block ×3, first 2 shown]
	v_add_f16_e32 v12, v52, v55
	v_fmamk_f16 v93, v51, 0xbb9c, v70
	v_fmac_f16_e32 v110, 0xb8b4, v51
	v_fmac_f16_e32 v70, 0x3b9c, v51
	v_fma_f16 v112, -0.5, v10, v50
	v_sub_f16_e32 v10, v61, v99
	v_add_f16_e32 v9, v9, v64
	v_add_f16_e32 v14, v69, v92
	v_lshrrev_b32_e32 v59, 16, v50
	v_add_f16_e32 v66, v13, v11
	v_fmac_f16_e32 v111, 0x34f2, v12
	v_fmac_f16_e32 v93, 0x38b4, v15
	;; [unrolled: 1-line block ×4, first 2 shown]
	v_fmamk_f16 v113, v10, 0xbb9c, v112
	v_sub_f16_e32 v11, v60, v63
	v_sub_f16_e32 v12, v69, v64
	v_sub_f16_e32 v13, v92, v65
	v_fmac_f16_e32 v112, 0x3b9c, v10
	v_add_f16_e32 v9, v9, v65
	v_fmac_f16_e32 v50, -0.5, v14
	v_fmac_f16_e32 v93, 0x34f2, v8
	v_fmac_f16_e32 v113, 0xb8b4, v11
	v_add_f16_e32 v12, v12, v13
	v_fmac_f16_e32 v112, 0x38b4, v11
	v_fmac_f16_e32 v70, 0x34f2, v8
	v_add_f16_e32 v114, v9, v92
	v_fmamk_f16 v115, v11, 0x3b9c, v50
	v_sub_f16_e32 v8, v64, v69
	v_sub_f16_e32 v9, v65, v92
	v_fmac_f16_e32 v50, 0xbb9c, v11
	v_add_f16_e32 v11, v59, v61
	v_fmac_f16_e32 v113, 0x34f2, v12
	v_fmac_f16_e32 v112, 0x34f2, v12
	v_add_f16_e32 v12, v60, v63
	v_fmac_f16_e32 v115, 0xb8b4, v10
	v_add_f16_e32 v8, v8, v9
	;; [unrolled: 2-line block ×3, first 2 shown]
	v_fma_f16 v116, -0.5, v12, v59
	v_sub_f16_e32 v12, v69, v92
	v_fmac_f16_e32 v115, 0x34f2, v8
	v_fmac_f16_e32 v50, 0x34f2, v8
	v_add_f16_e32 v8, v9, v63
	v_add_f16_e32 v9, v61, v99
	v_fmamk_f16 v69, v12, 0x3b9c, v116
	v_sub_f16_e32 v13, v64, v65
	v_sub_f16_e32 v10, v61, v60
	;; [unrolled: 1-line block ×3, first 2 shown]
	v_fmac_f16_e32 v59, -0.5, v9
	v_fmac_f16_e32 v116, 0xbb9c, v12
	v_add_f16_e32 v64, v8, v99
	v_fmac_f16_e32 v69, 0x38b4, v13
	v_add_f16_e32 v8, v10, v11
	v_fmamk_f16 v65, v13, 0xbb9c, v59
	v_sub_f16_e32 v9, v60, v61
	v_sub_f16_e32 v10, v63, v99
	v_fmac_f16_e32 v116, 0xb8b4, v13
	v_fmac_f16_e32 v59, 0x3b9c, v13
	v_sub_f16_e32 v13, v4, v5
	v_sub_f16_e32 v51, v0, v7
	v_add_f16_e32 v11, v5, v7
	v_fmac_f16_e32 v65, 0x38b4, v12
	v_add_f16_e32 v63, v9, v10
	v_add_f16_e32 v9, v4, v0
	v_fmac_f16_e32 v59, 0xb8b4, v12
	v_add_f16_e32 v12, v1, v2
	v_add_f16_e32 v55, v13, v51
	;; [unrolled: 1-line block ×3, first 2 shown]
	v_fmac_f16_e32 v69, 0x34f2, v8
	v_fmac_f16_e32 v116, 0x34f2, v8
	v_fma_f16 v8, -0.5, v11, v54
	v_sub_f16_e32 v10, v6, v3
	v_sub_f16_e32 v11, v1, v2
	v_fma_f16 v9, -0.5, v9, v54
	v_fma_f16 v12, -0.5, v12, v53
	v_sub_f16_e32 v56, v4, v0
	v_sub_f16_e32 v58, v5, v7
	v_fma_f16 v13, -0.5, v13, v53
	v_fmamk_f16 v14, v10, 0xbb9c, v8
	v_fmamk_f16 v15, v11, 0x3b9c, v9
	v_sub_f16_e32 v60, v5, v4
	v_sub_f16_e32 v61, v7, v0
	v_fmamk_f16 v51, v56, 0x3b9c, v12
	v_sub_f16_e32 v92, v6, v1
	v_sub_f16_e32 v99, v3, v2
	;; [unrolled: 3-line block ×3, first 2 shown]
	v_fmac_f16_e32 v65, 0x34f2, v63
	v_fmac_f16_e32 v14, 0xb8b4, v11
	;; [unrolled: 1-line block ×3, first 2 shown]
	v_add_f16_e32 v62, v60, v61
	v_fmac_f16_e32 v51, 0x38b4, v58
	v_add_f16_e32 v61, v92, v99
	v_fmac_f16_e32 v52, 0x38b4, v56
	;; [unrolled: 2-line block ×3, first 2 shown]
	v_pack_b32_f16 v63, v102, v107
	v_pack_b32_f16 v67, v67, v100
	;; [unrolled: 1-line block ×7, first 2 shown]
	v_fmac_f16_e32 v14, 0x34f2, v55
	v_fmac_f16_e32 v15, 0x34f2, v62
	;; [unrolled: 1-line block ×4, first 2 shown]
	s_barrier
	buffer_gl0_inv
	ds_write2_b32 v95, v63, v67 offset1:5
	ds_write2_b32 v95, v92, v90 offset0:10 offset1:15
	ds_write_b32 v95, v91 offset:80
	ds_write2_b32 v97, v66, v68 offset1:5
	v_pack_b32_f16 v63, v109, v93
	v_pack_b32_f16 v57, v57, v70
	;; [unrolled: 1-line block ×8, first 2 shown]
	ds_write2_b32 v97, v63, v57 offset0:10 offset1:15
	ds_write_b32 v97, v66 offset:80
	ds_write2_b32 v96, v64, v67 offset1:5
	ds_write2_b32 v96, v65, v50 offset0:10 offset1:15
	ds_write_b32 v96, v59 offset:80
	s_and_saveexec_b32 s1, vcc_lo
	s_cbranch_execz .LBB0_25
; %bb.24:
	v_add_f16_e32 v6, v6, v53
	v_add_f16_e32 v4, v4, v54
	v_mul_f16_e32 v57, 0x38b4, v11
	v_mul_f16_e32 v11, 0x3b9c, v11
	;; [unrolled: 1-line block ×3, first 2 shown]
	v_add_f16_e32 v1, v1, v6
	v_mul_f16_e32 v6, 0x3b9c, v56
	v_mul_f16_e32 v10, 0x38b4, v10
	v_mul_f16_e32 v54, 0x38b4, v58
	v_mul_f16_e32 v53, 0x34f2, v55
	v_add_f16_e32 v1, v2, v1
	v_add_f16_e32 v2, v5, v4
	v_mul_f16_e32 v4, 0x3b9c, v58
	v_mul_f16_e32 v5, 0x38b4, v56
	;; [unrolled: 1-line block ×3, first 2 shown]
	v_add_f16_e32 v1, v3, v1
	v_add_f16_e32 v2, v7, v2
	;; [unrolled: 1-line block ×3, first 2 shown]
	v_sub_f16_e32 v4, v12, v6
	v_sub_f16_e32 v6, v9, v11
	v_add_f16_e32 v7, v8, v50
	v_mul_f16_e32 v56, 0x34f2, v60
	v_add_f16_e32 v0, v0, v2
	v_sub_f16_e32 v2, v3, v5
	v_sub_f16_e32 v3, v4, v54
	v_add_f16_e32 v4, v10, v6
	v_mul_f16_e32 v59, 0x34f2, v61
	v_add_f16_e32 v5, v57, v7
	v_and_b32_e32 v6, 0xffff, v94
	v_add_f16_e32 v2, v56, v2
	v_add_f16_e32 v4, v55, v4
	;; [unrolled: 1-line block ×4, first 2 shown]
	v_lshl_add_u32 v6, v6, 2, v89
	v_pack_b32_f16 v0, v0, v1
	v_perm_b32 v1, v51, v14, 0x5040100
	v_perm_b32 v7, v52, v15, 0x5040100
	v_pack_b32_f16 v2, v4, v2
	v_pack_b32_f16 v3, v5, v3
	ds_write2_b32 v6, v0, v1 offset1:5
	ds_write2_b32 v6, v7, v2 offset0:10 offset1:15
	ds_write_b32 v6, v3 offset:80
.LBB0_25:
	s_or_b32 exec_lo, exec_lo, s1
	s_waitcnt lgkmcnt(0)
	s_barrier
	buffer_gl0_inv
	ds_read2_b32 v[0:1], v71 offset1:75
	ds_read2_b32 v[2:3], v71 offset0:150 offset1:225
	v_add_nc_u32_e32 v50, 0x400, v71
	v_add_nc_u32_e32 v55, 0x600, v71
	;; [unrolled: 1-line block ×5, first 2 shown]
	ds_read2_b32 v[4:5], v50 offset0:44 offset1:119
	ds_read2_b32 v[6:7], v55 offset0:66 offset1:141
	;; [unrolled: 1-line block ×4, first 2 shown]
	v_add_nc_u32_e32 v53, 0x1000, v71
	ds_read2_b32 v[12:13], v57 offset0:132 offset1:207
	ds_read2_b32 v[53:54], v53 offset0:26 offset1:101
	s_waitcnt lgkmcnt(0)
	s_barrier
	buffer_gl0_inv
	v_lshrrev_b32_e32 v59, 16, v1
	v_lshrrev_b32_e32 v60, 16, v2
	;; [unrolled: 1-line block ×3, first 2 shown]
	v_mul_f16_sdwa v93, v24, v1 dst_sel:DWORD dst_unused:UNUSED_PAD src0_sel:WORD_1 src1_sel:DWORD
	v_lshrrev_b32_e32 v58, 16, v0
	v_mul_f16_sdwa v90, v24, v59 dst_sel:DWORD dst_unused:UNUSED_PAD src0_sel:WORD_1 src1_sel:DWORD
	v_mul_f16_sdwa v94, v25, v60 dst_sel:DWORD dst_unused:UNUSED_PAD src0_sel:WORD_1 src1_sel:DWORD
	v_lshrrev_b32_e32 v62, 16, v4
	v_mul_f16_sdwa v95, v26, v61 dst_sel:DWORD dst_unused:UNUSED_PAD src0_sel:WORD_1 src1_sel:DWORD
	v_lshrrev_b32_e32 v63, 16, v5
	v_fmac_f16_e32 v90, v24, v1
	v_mul_f16_sdwa v1, v25, v2 dst_sel:DWORD dst_unused:UNUSED_PAD src0_sel:WORD_1 src1_sel:DWORD
	v_lshrrev_b32_e32 v64, 16, v6
	v_lshrrev_b32_e32 v65, 16, v7
	v_fmac_f16_e32 v94, v25, v2
	v_mul_f16_sdwa v2, v26, v3 dst_sel:DWORD dst_unused:UNUSED_PAD src0_sel:WORD_1 src1_sel:DWORD
	v_fma_f16 v1, v25, v60, -v1
	v_fmac_f16_e32 v95, v26, v3
	v_mul_f16_sdwa v3, v27, v62 dst_sel:DWORD dst_unused:UNUSED_PAD src0_sel:WORD_1 src1_sel:DWORD
	v_mul_f16_sdwa v25, v27, v4 dst_sel:DWORD dst_unused:UNUSED_PAD src0_sel:WORD_1 src1_sel:DWORD
	v_lshrrev_b32_e32 v66, 16, v8
	v_fma_f16 v24, v24, v59, -v93
	v_fma_f16 v2, v26, v61, -v2
	v_mul_f16_sdwa v26, v20, v63 dst_sel:DWORD dst_unused:UNUSED_PAD src0_sel:WORD_1 src1_sel:DWORD
	v_mul_f16_sdwa v59, v20, v5 dst_sel:DWORD dst_unused:UNUSED_PAD src0_sel:WORD_1 src1_sel:DWORD
	v_fmac_f16_e32 v3, v27, v4
	v_fma_f16 v4, v27, v62, -v25
	v_mul_f16_sdwa v25, v21, v64 dst_sel:DWORD dst_unused:UNUSED_PAD src0_sel:WORD_1 src1_sel:DWORD
	v_mul_f16_sdwa v27, v22, v65 dst_sel:DWORD dst_unused:UNUSED_PAD src0_sel:WORD_1 src1_sel:DWORD
	v_lshrrev_b32_e32 v67, 16, v9
	v_lshrrev_b32_e32 v68, 16, v10
	v_fmac_f16_e32 v26, v20, v5
	v_fma_f16 v5, v20, v63, -v59
	v_mul_f16_sdwa v20, v21, v6 dst_sel:DWORD dst_unused:UNUSED_PAD src0_sel:WORD_1 src1_sel:DWORD
	v_fmac_f16_e32 v25, v21, v6
	v_mul_f16_sdwa v6, v22, v7 dst_sel:DWORD dst_unused:UNUSED_PAD src0_sel:WORD_1 src1_sel:DWORD
	v_mul_f16_sdwa v59, v23, v66 dst_sel:DWORD dst_unused:UNUSED_PAD src0_sel:WORD_1 src1_sel:DWORD
	v_fmac_f16_e32 v27, v22, v7
	v_mul_f16_sdwa v7, v23, v8 dst_sel:DWORD dst_unused:UNUSED_PAD src0_sel:WORD_1 src1_sel:DWORD
	v_lshrrev_b32_e32 v69, 16, v11
	v_fma_f16 v20, v21, v64, -v20
	v_fma_f16 v6, v22, v65, -v6
	v_fmac_f16_e32 v59, v23, v8
	v_mul_f16_sdwa v8, v16, v67 dst_sel:DWORD dst_unused:UNUSED_PAD src0_sel:WORD_1 src1_sel:DWORD
	v_mul_f16_sdwa v21, v16, v9 dst_sel:DWORD dst_unused:UNUSED_PAD src0_sel:WORD_1 src1_sel:DWORD
	v_fma_f16 v7, v23, v66, -v7
	v_mul_f16_sdwa v22, v17, v68 dst_sel:DWORD dst_unused:UNUSED_PAD src0_sel:WORD_1 src1_sel:DWORD
	v_mul_f16_sdwa v23, v17, v10 dst_sel:DWORD dst_unused:UNUSED_PAD src0_sel:WORD_1 src1_sel:DWORD
	v_lshrrev_b32_e32 v70, 16, v12
	v_lshrrev_b32_e32 v89, 16, v13
	v_fmac_f16_e32 v8, v16, v9
	v_fma_f16 v9, v16, v67, -v21
	v_mul_f16_sdwa v16, v18, v69 dst_sel:DWORD dst_unused:UNUSED_PAD src0_sel:WORD_1 src1_sel:DWORD
	v_fmac_f16_e32 v22, v17, v10
	v_fma_f16 v10, v17, v68, -v23
	v_mul_f16_sdwa v17, v18, v11 dst_sel:DWORD dst_unused:UNUSED_PAD src0_sel:WORD_1 src1_sel:DWORD
	v_lshrrev_b32_e32 v91, 16, v53
	v_mul_f16_sdwa v21, v19, v70 dst_sel:DWORD dst_unused:UNUSED_PAD src0_sel:WORD_1 src1_sel:DWORD
	v_fmac_f16_e32 v16, v18, v11
	v_mul_f16_sdwa v11, v19, v12 dst_sel:DWORD dst_unused:UNUSED_PAD src0_sel:WORD_1 src1_sel:DWORD
	v_mul_f16_sdwa v23, v28, v89 dst_sel:DWORD dst_unused:UNUSED_PAD src0_sel:WORD_1 src1_sel:DWORD
	v_fma_f16 v17, v18, v69, -v17
	v_mul_f16_sdwa v18, v29, v53 dst_sel:DWORD dst_unused:UNUSED_PAD src0_sel:WORD_1 src1_sel:DWORD
	v_fmac_f16_e32 v21, v19, v12
	v_mul_f16_sdwa v12, v28, v13 dst_sel:DWORD dst_unused:UNUSED_PAD src0_sel:WORD_1 src1_sel:DWORD
	v_fma_f16 v11, v19, v70, -v11
	v_fmac_f16_e32 v23, v28, v13
	v_mul_f16_sdwa v13, v29, v91 dst_sel:DWORD dst_unused:UNUSED_PAD src0_sel:WORD_1 src1_sel:DWORD
	v_fma_f16 v18, v29, v91, -v18
	v_lshrrev_b32_e32 v92, 16, v54
	v_sub_f16_e32 v11, v4, v11
	v_sub_f16_e32 v22, v94, v22
	v_fmac_f16_e32 v13, v29, v53
	v_sub_f16_e32 v29, v0, v59
	v_sub_f16_e32 v18, v20, v18
	v_fma_f16 v12, v28, v89, -v12
	v_mul_f16_sdwa v19, v30, v92 dst_sel:DWORD dst_unused:UNUSED_PAD src0_sel:WORD_1 src1_sel:DWORD
	v_mul_f16_sdwa v28, v30, v54 dst_sel:DWORD dst_unused:UNUSED_PAD src0_sel:WORD_1 src1_sel:DWORD
	v_sub_f16_e32 v7, v58, v7
	v_sub_f16_e32 v21, v3, v21
	;; [unrolled: 1-line block ×3, first 2 shown]
	v_fma_f16 v4, v4, 2.0, -v11
	v_sub_f16_e32 v13, v25, v13
	v_fma_f16 v20, v20, 2.0, -v18
	v_add_f16_e32 v11, v29, v11
	v_add_f16_e32 v18, v22, v18
	v_fmac_f16_e32 v19, v30, v54
	v_fma_f16 v28, v30, v92, -v28
	v_fma_f16 v0, v0, 2.0, -v29
	v_fma_f16 v30, v58, 2.0, -v7
	;; [unrolled: 1-line block ×6, first 2 shown]
	v_sub_f16_e32 v21, v7, v21
	v_fma_f16 v29, v29, 2.0, -v11
	v_sub_f16_e32 v13, v10, v13
	v_fma_f16 v22, v22, 2.0, -v18
	v_sub_f16_e32 v8, v90, v8
	v_sub_f16_e32 v9, v24, v9
	;; [unrolled: 1-line block ×9, first 2 shown]
	v_fma_f16 v7, v7, 2.0, -v21
	v_sub_f16_e32 v20, v1, v20
	v_fma_f16 v10, v10, 2.0, -v13
	v_fmamk_f16 v59, v22, 0xb9a8, v29
	v_fma_f16 v54, v90, 2.0, -v8
	v_fma_f16 v24, v24, 2.0, -v9
	;; [unrolled: 1-line block ×10, first 2 shown]
	v_add_f16_e32 v12, v8, v12
	v_add_f16_e32 v28, v16, v28
	v_fmamk_f16 v60, v10, 0xb9a8, v7
	v_fmac_f16_e32 v59, 0x39a8, v10
	v_sub_f16_e32 v3, v0, v3
	v_sub_f16_e32 v25, v53, v25
	v_sub_f16_e32 v26, v54, v26
	v_sub_f16_e32 v5, v24, v5
	v_sub_f16_e32 v23, v9, v23
	v_sub_f16_e32 v27, v58, v27
	v_sub_f16_e32 v6, v2, v6
	v_fma_f16 v8, v8, 2.0, -v12
	v_sub_f16_e32 v19, v17, v19
	v_fma_f16 v16, v16, 2.0, -v28
	v_sub_f16_e32 v1, v30, v1
	v_fmac_f16_e32 v60, 0xb9a8, v22
	v_fma_f16 v22, v29, 2.0, -v59
	v_fmamk_f16 v29, v18, 0x39a8, v11
	v_fma_f16 v0, v0, 2.0, -v3
	v_fma_f16 v53, v53, 2.0, -v25
	;; [unrolled: 1-line block ×9, first 2 shown]
	v_fmamk_f16 v30, v13, 0x39a8, v21
	v_fmac_f16_e32 v29, 0x39a8, v13
	v_fmamk_f16 v13, v16, 0xb9a8, v8
	v_sub_f16_e32 v53, v0, v53
	v_sub_f16_e32 v2, v24, v2
	v_fmac_f16_e32 v30, 0xb9a8, v18
	v_sub_f16_e32 v18, v54, v58
	v_fmamk_f16 v58, v10, 0xb9a8, v9
	v_fmac_f16_e32 v13, 0x39a8, v10
	v_fma_f16 v0, v0, 2.0, -v53
	v_add_f16_e32 v20, v3, v20
	v_fma_f16 v10, v21, 2.0, -v30
	v_fma_f16 v21, v54, 2.0, -v18
	;; [unrolled: 1-line block ×3, first 2 shown]
	v_fmac_f16_e32 v58, 0xb9a8, v16
	v_fma_f16 v8, v8, 2.0, -v13
	v_fmamk_f16 v54, v28, 0x39a8, v12
	v_add_f16_e32 v6, v26, v6
	v_fmamk_f16 v61, v19, 0x39a8, v23
	v_sub_f16_e32 v25, v4, v25
	v_fma_f16 v7, v7, 2.0, -v60
	v_fma_f16 v3, v3, 2.0, -v20
	v_sub_f16_e32 v27, v5, v27
	v_fma_f16 v9, v9, 2.0, -v58
	v_fmac_f16_e32 v54, 0x39a8, v19
	v_fma_f16 v16, v26, 2.0, -v6
	v_fmac_f16_e32 v61, 0xb9a8, v28
	v_sub_f16_e32 v19, v0, v21
	v_sub_f16_e32 v21, v17, v24
	v_fmamk_f16 v24, v8, 0xbb64, v22
	v_fma_f16 v4, v4, 2.0, -v25
	v_fma_f16 v11, v11, 2.0, -v29
	;; [unrolled: 1-line block ×5, first 2 shown]
	v_fmamk_f16 v26, v9, 0xbb64, v7
	v_fmac_f16_e32 v24, 0x361f, v9
	v_fmamk_f16 v9, v16, 0xb9a8, v3
	v_fmamk_f16 v62, v5, 0xb9a8, v4
	v_fma_f16 v28, v17, 2.0, -v21
	v_fmac_f16_e32 v26, 0xb61f, v8
	v_fmamk_f16 v8, v12, 0xb61f, v11
	v_fmac_f16_e32 v9, 0x39a8, v5
	v_fmamk_f16 v5, v23, 0xb61f, v10
	;; [unrolled: 2-line block ×4, first 2 shown]
	v_fmac_f16_e32 v5, 0xbb64, v12
	v_sub_f16_e32 v12, v1, v18
	v_fmamk_f16 v18, v13, 0x361f, v59
	v_fmamk_f16 v17, v61, 0x3b64, v30
	v_fmac_f16_e32 v23, 0xbb64, v13
	v_fmamk_f16 v13, v6, 0x39a8, v20
	v_add_f16_e32 v2, v53, v2
	v_fmac_f16_e32 v18, 0x3b64, v58
	v_fmamk_f16 v58, v27, 0x39a8, v25
	v_fma_f16 v0, v0, 2.0, -v19
	v_fma_f16 v22, v22, 2.0, -v24
	;; [unrolled: 1-line block ×3, first 2 shown]
	v_fmac_f16_e32 v13, 0x39a8, v27
	v_fmac_f16_e32 v58, 0xb9a8, v6
	;; [unrolled: 1-line block ×4, first 2 shown]
	v_fma_f16 v3, v3, 2.0, -v9
	v_fma_f16 v4, v4, 2.0, -v62
	;; [unrolled: 1-line block ×12, first 2 shown]
	v_pack_b32_f16 v0, v0, v28
	v_pack_b32_f16 v7, v22, v7
	;; [unrolled: 1-line block ×6, first 2 shown]
	ds_write2_b32 v98, v0, v7 offset1:25
	ds_write2_b32 v98, v3, v4 offset0:50 offset1:75
	ds_write2_b32 v98, v1, v6 offset0:100 offset1:125
	v_pack_b32_f16 v0, v20, v25
	v_pack_b32_f16 v1, v27, v29
	;; [unrolled: 1-line block ×6, first 2 shown]
	v_add_nc_u32_e32 v7, 0x200, v98
	v_pack_b32_f16 v2, v2, v12
	v_pack_b32_f16 v8, v18, v23
	v_add_nc_u32_e32 v9, 0x400, v98
	v_pack_b32_f16 v10, v13, v58
	v_pack_b32_f16 v11, v16, v17
	ds_write2_b32 v98, v0, v1 offset0:150 offset1:175
	ds_write2_b32 v98, v3, v4 offset0:200 offset1:225
	;; [unrolled: 1-line block ×5, first 2 shown]
	v_add_nc_u32_e32 v6, 0xe00, v71
	s_waitcnt lgkmcnt(0)
	s_barrier
	buffer_gl0_inv
	ds_read2_b32 v[4:5], v71 offset1:75
	ds_read2_b32 v[0:1], v50 offset0:44 offset1:144
	ds_read2_b32 v[12:13], v57 offset0:32 offset1:107
	;; [unrolled: 1-line block ×6, first 2 shown]
	ds_read_b32 v21, v71 offset:4400
	v_add_nc_u32_e32 v20, 0x258, v71
	v_add_nc_u32_e32 v19, 0x384, v71
	;; [unrolled: 1-line block ×3, first 2 shown]
	s_and_saveexec_b32 s1, s0
	s_cbranch_execz .LBB0_27
; %bb.26:
	ds_read_b32 v16, v71 offset:1500
	ds_read_b32 v14, v71 offset:3100
	ds_read_b32 v15, v71 offset:4700
	s_waitcnt lgkmcnt(2)
	v_lshrrev_b32_e32 v17, 16, v16
	s_waitcnt lgkmcnt(1)
	v_lshrrev_b32_e32 v51, 16, v14
	;; [unrolled: 2-line block ×3, first 2 shown]
.LBB0_27:
	s_or_b32 exec_lo, exec_lo, s1
	s_waitcnt lgkmcnt(6)
	v_lshrrev_b32_e32 v23, 16, v1
	s_waitcnt lgkmcnt(5)
	v_lshrrev_b32_e32 v24, 16, v12
	;; [unrolled: 2-line block ×3, first 2 shown]
	v_mul_f16_sdwa v58, v48, v1 dst_sel:DWORD dst_unused:UNUSED_PAD src0_sel:WORD_1 src1_sel:DWORD
	v_lshrrev_b32_e32 v27, 16, v13
	v_mul_f16_sdwa v56, v48, v23 dst_sel:DWORD dst_unused:UNUSED_PAD src0_sel:WORD_1 src1_sel:DWORD
	v_mul_f16_sdwa v60, v49, v24 dst_sel:DWORD dst_unused:UNUSED_PAD src0_sel:WORD_1 src1_sel:DWORD
	v_lshrrev_b32_e32 v29, 16, v11
	v_fma_f16 v23, v48, v23, -v58
	s_waitcnt lgkmcnt(2)
	v_lshrrev_b32_e32 v30, 16, v8
	v_fmac_f16_e32 v56, v48, v1
	v_mul_f16_sdwa v1, v49, v12 dst_sel:DWORD dst_unused:UNUSED_PAD src0_sel:WORD_1 src1_sel:DWORD
	v_mul_f16_sdwa v48, v46, v26 dst_sel:DWORD dst_unused:UNUSED_PAD src0_sel:WORD_1 src1_sel:DWORD
	v_fmac_f16_e32 v60, v49, v12
	v_mul_f16_sdwa v12, v46, v10 dst_sel:DWORD dst_unused:UNUSED_PAD src0_sel:WORD_1 src1_sel:DWORD
	s_waitcnt lgkmcnt(1)
	v_lshrrev_b32_e32 v53, 16, v6
	v_fma_f16 v1, v49, v24, -v1
	v_mul_f16_sdwa v24, v47, v27 dst_sel:DWORD dst_unused:UNUSED_PAD src0_sel:WORD_1 src1_sel:DWORD
	v_fmac_f16_e32 v48, v46, v10
	v_mul_f16_sdwa v10, v47, v13 dst_sel:DWORD dst_unused:UNUSED_PAD src0_sel:WORD_1 src1_sel:DWORD
	v_fma_f16 v12, v46, v26, -v12
	v_mul_f16_sdwa v26, v44, v29 dst_sel:DWORD dst_unused:UNUSED_PAD src0_sel:WORD_1 src1_sel:DWORD
	v_lshrrev_b32_e32 v54, 16, v9
	v_fmac_f16_e32 v24, v47, v13
	v_mul_f16_sdwa v13, v44, v11 dst_sel:DWORD dst_unused:UNUSED_PAD src0_sel:WORD_1 src1_sel:DWORD
	v_fma_f16 v10, v47, v27, -v10
	v_mul_f16_sdwa v27, v45, v30 dst_sel:DWORD dst_unused:UNUSED_PAD src0_sel:WORD_1 src1_sel:DWORD
	v_fmac_f16_e32 v26, v44, v11
	v_mul_f16_sdwa v11, v45, v8 dst_sel:DWORD dst_unused:UNUSED_PAD src0_sel:WORD_1 src1_sel:DWORD
	v_lshrrev_b32_e32 v57, 16, v7
	v_fma_f16 v13, v44, v29, -v13
	v_mul_f16_sdwa v29, v42, v53 dst_sel:DWORD dst_unused:UNUSED_PAD src0_sel:WORD_1 src1_sel:DWORD
	v_fmac_f16_e32 v27, v45, v8
	v_mul_f16_sdwa v8, v42, v6 dst_sel:DWORD dst_unused:UNUSED_PAD src0_sel:WORD_1 src1_sel:DWORD
	v_fma_f16 v11, v45, v30, -v11
	v_mul_f16_sdwa v30, v43, v54 dst_sel:DWORD dst_unused:UNUSED_PAD src0_sel:WORD_1 src1_sel:DWORD
	s_waitcnt lgkmcnt(0)
	v_lshrrev_b32_e32 v59, 16, v21
	v_fmac_f16_e32 v29, v42, v6
	v_mul_f16_sdwa v6, v43, v9 dst_sel:DWORD dst_unused:UNUSED_PAD src0_sel:WORD_1 src1_sel:DWORD
	v_fma_f16 v8, v42, v53, -v8
	v_mul_f16_sdwa v42, v40, v57 dst_sel:DWORD dst_unused:UNUSED_PAD src0_sel:WORD_1 src1_sel:DWORD
	v_fmac_f16_e32 v30, v43, v9
	v_mul_f16_sdwa v9, v40, v7 dst_sel:DWORD dst_unused:UNUSED_PAD src0_sel:WORD_1 src1_sel:DWORD
	v_lshrrev_b32_e32 v22, 16, v4
	v_fma_f16 v6, v43, v54, -v6
	v_mul_f16_sdwa v43, v41, v59 dst_sel:DWORD dst_unused:UNUSED_PAD src0_sel:WORD_1 src1_sel:DWORD
	v_fmac_f16_e32 v42, v40, v7
	v_mul_f16_sdwa v7, v41, v21 dst_sel:DWORD dst_unused:UNUSED_PAD src0_sel:WORD_1 src1_sel:DWORD
	v_fma_f16 v9, v40, v57, -v9
	v_add_f16_e32 v40, v56, v60
	v_fmac_f16_e32 v43, v41, v21
	v_add_f16_e32 v21, v4, v56
	v_fma_f16 v7, v41, v59, -v7
	v_add_f16_e32 v41, v23, v1
	v_fma_f16 v4, -0.5, v40, v4
	v_sub_f16_e32 v40, v23, v1
	v_add_f16_e32 v23, v22, v23
	v_lshrrev_b32_e32 v25, 16, v5
	v_fmac_f16_e32 v22, -0.5, v41
	v_sub_f16_e32 v41, v56, v60
	v_fmamk_f16 v44, v40, 0xbaee, v4
	v_add_f16_e32 v1, v23, v1
	v_add_f16_e32 v23, v48, v24
	v_fmac_f16_e32 v4, 0x3aee, v40
	v_fmamk_f16 v40, v41, 0x3aee, v22
	v_add_f16_e32 v45, v5, v48
	v_fmac_f16_e32 v22, 0xbaee, v41
	v_add_f16_e32 v41, v12, v10
	v_fmac_f16_e32 v5, -0.5, v23
	v_sub_f16_e32 v23, v12, v10
	v_add_f16_e32 v12, v25, v12
	v_add_f16_e32 v45, v45, v24
	v_fmac_f16_e32 v25, -0.5, v41
	v_sub_f16_e32 v24, v48, v24
	v_lshrrev_b32_e32 v28, 16, v2
	v_add_f16_e32 v10, v12, v10
	v_add_f16_e32 v12, v26, v27
	v_fmamk_f16 v41, v23, 0xbaee, v5
	v_fmac_f16_e32 v5, 0x3aee, v23
	v_fmamk_f16 v23, v24, 0x3aee, v25
	v_add_f16_e32 v46, v2, v26
	v_fmac_f16_e32 v25, 0xbaee, v24
	v_add_f16_e32 v24, v13, v11
	v_fma_f16 v2, -0.5, v12, v2
	v_sub_f16_e32 v12, v13, v11
	v_lshrrev_b32_e32 v50, 16, v3
	v_add_f16_e32 v13, v28, v13
	v_fmac_f16_e32 v28, -0.5, v24
	v_sub_f16_e32 v24, v26, v27
	v_fmamk_f16 v26, v12, 0xbaee, v2
	v_fmac_f16_e32 v2, 0x3aee, v12
	v_add_f16_e32 v12, v29, v30
	v_add_f16_e32 v46, v46, v27
	;; [unrolled: 1-line block ×3, first 2 shown]
	v_fmamk_f16 v13, v24, 0x3aee, v28
	v_add_f16_e32 v27, v3, v29
	v_fmac_f16_e32 v28, 0xbaee, v24
	v_add_f16_e32 v24, v8, v6
	v_fmac_f16_e32 v3, -0.5, v12
	v_sub_f16_e32 v12, v8, v6
	v_add_f16_e32 v8, v50, v8
	v_lshrrev_b32_e32 v55, 16, v0
	v_fmac_f16_e32 v50, -0.5, v24
	v_sub_f16_e32 v24, v29, v30
	v_add_f16_e32 v21, v21, v60
	v_add_f16_e32 v6, v8, v6
	;; [unrolled: 1-line block ×4, first 2 shown]
	v_fmamk_f16 v29, v12, 0xbaee, v3
	v_fmac_f16_e32 v3, 0x3aee, v12
	v_fmamk_f16 v12, v24, 0x3aee, v50
	v_fmac_f16_e32 v50, 0xbaee, v24
	v_add_f16_e32 v24, v9, v7
	v_add_f16_e32 v30, v0, v42
	v_fmac_f16_e32 v0, -0.5, v8
	v_sub_f16_e32 v8, v9, v7
	v_add_f16_e32 v9, v55, v9
	v_pack_b32_f16 v1, v21, v1
	v_pack_b32_f16 v4, v4, v22
	v_fmac_f16_e32 v55, -0.5, v24
	v_sub_f16_e32 v24, v42, v43
	v_add_f16_e32 v7, v9, v7
	v_pack_b32_f16 v9, v44, v40
	v_pack_b32_f16 v10, v45, v10
	;; [unrolled: 1-line block ×3, first 2 shown]
	ds_write_b32 v71, v1
	ds_write_b32 v88, v9 offset:1600
	ds_write_b32 v88, v4 offset:3200
	;; [unrolled: 1-line block ×4, first 2 shown]
	v_pack_b32_f16 v1, v5, v25
	v_pack_b32_f16 v4, v46, v11
	v_add_f16_e32 v30, v30, v43
	v_pack_b32_f16 v5, v26, v13
	v_fmamk_f16 v42, v8, 0xbaee, v0
	v_fmac_f16_e32 v0, 0x3aee, v8
	v_fmamk_f16 v8, v24, 0x3aee, v55
	v_pack_b32_f16 v2, v2, v28
	v_fmac_f16_e32 v55, 0xbaee, v24
	v_pack_b32_f16 v6, v27, v6
	ds_write_b32 v88, v1 offset:3500
	ds_write_b32 v71, v4 offset:600
	;; [unrolled: 1-line block ×5, first 2 shown]
	v_pack_b32_f16 v1, v29, v12
	v_pack_b32_f16 v2, v3, v50
	;; [unrolled: 1-line block ×5, first 2 shown]
	ds_write_b32 v19, v1 offset:1600
	ds_write_b32 v19, v2 offset:3200
	;; [unrolled: 1-line block ×5, first 2 shown]
	s_and_saveexec_b32 s1, s0
	s_cbranch_execz .LBB0_29
; %bb.28:
	v_mul_f16_sdwa v0, v39, v15 dst_sel:DWORD dst_unused:UNUSED_PAD src0_sel:WORD_1 src1_sel:DWORD
	v_mul_f16_sdwa v1, v38, v14 dst_sel:DWORD dst_unused:UNUSED_PAD src0_sel:WORD_1 src1_sel:DWORD
	;; [unrolled: 1-line block ×4, first 2 shown]
	v_fma_f16 v0, v39, v52, -v0
	v_fma_f16 v1, v38, v51, -v1
	v_fmac_f16_e32 v2, v38, v14
	v_fmac_f16_e32 v3, v39, v15
	v_add_f16_e32 v4, v1, v0
	v_add_f16_e32 v5, v1, v17
	;; [unrolled: 1-line block ×4, first 2 shown]
	v_sub_f16_e32 v2, v2, v3
	v_fmac_f16_e32 v17, -0.5, v4
	v_sub_f16_e32 v1, v1, v0
	v_fmac_f16_e32 v16, -0.5, v6
	v_add_f16_e32 v0, v0, v5
	v_add_f16_e32 v3, v7, v3
	v_fmamk_f16 v4, v2, 0xbaee, v17
	v_fmac_f16_e32 v17, 0x3aee, v2
	v_fmamk_f16 v2, v1, 0x3aee, v16
	v_fmac_f16_e32 v16, 0xbaee, v1
	v_pack_b32_f16 v0, v3, v0
	v_pack_b32_f16 v2, v2, v4
	;; [unrolled: 1-line block ×3, first 2 shown]
	ds_write_b32 v71, v0 offset:1500
	ds_write_b32 v71, v1 offset:3100
	;; [unrolled: 1-line block ×3, first 2 shown]
.LBB0_29:
	s_or_b32 exec_lo, exec_lo, s1
	s_waitcnt lgkmcnt(0)
	s_barrier
	buffer_gl0_inv
	ds_read2_b32 v[5:6], v71 offset1:75
	ds_read2_b32 v[0:1], v71 offset0:150 offset1:240
	v_mad_u64_u32 v[7:8], null, s10, v37, 0
	v_mad_u64_u32 v[9:10], null, s8, v84, 0
	s_mov_b32 s4, 0xb4e81b4f
	s_mov_b32 s5, 0x3f4b4e81
	s_waitcnt lgkmcnt(1)
	v_lshrrev_b32_e32 v2, 16, v5
	v_mul_f16_sdwa v3, v86, v5 dst_sel:DWORD dst_unused:UNUSED_PAD src0_sel:WORD_1 src1_sel:DWORD
	s_waitcnt lgkmcnt(0)
	v_lshrrev_b32_e32 v4, 16, v1
	v_mul_f16_sdwa v11, v87, v1 dst_sel:DWORD dst_unused:UNUSED_PAD src0_sel:WORD_1 src1_sel:DWORD
	v_mul_f16_sdwa v12, v86, v2 dst_sel:DWORD dst_unused:UNUSED_PAD src0_sel:WORD_1 src1_sel:DWORD
	v_fma_f16 v3, v86, v2, -v3
	v_mul_f16_sdwa v15, v87, v4 dst_sel:DWORD dst_unused:UNUSED_PAD src0_sel:WORD_1 src1_sel:DWORD
	v_fma_f16 v2, v87, v4, -v11
	v_add_nc_u32_e32 v11, 0x600, v71
	v_fmac_f16_e32 v12, v86, v5
	v_cvt_f32_f16_e32 v3, v3
	v_fmac_f16_e32 v15, v87, v1
	v_cvt_f32_f16_e32 v13, v2
	v_mov_b32_e32 v1, v8
	v_cvt_f32_f16_e32 v14, v12
	v_cvt_f64_f32_e32 v[4:5], v3
	ds_read2_b32 v[2:3], v11 offset0:96 offset1:171
	v_cvt_f64_f32_e32 v[11:12], v13
	v_cvt_f32_f16_e32 v17, v15
	v_cvt_f64_f32_e32 v[13:14], v14
	v_mov_b32_e32 v8, v10
	v_mad_u64_u32 v[18:19], null, s9, v84, v[8:9]
	v_mov_b32_e32 v10, v18
	s_waitcnt lgkmcnt(0)
	v_mad_u64_u32 v[15:16], null, s11, v37, v[1:2]
	v_mul_f64 v[4:5], v[4:5], s[4:5]
	v_cvt_f64_f32_e32 v[16:17], v17
	v_mul_f64 v[11:12], v[11:12], s[4:5]
	v_mul_f64 v[13:14], v[13:14], s[4:5]
	v_lshrrev_b32_e32 v1, 16, v2
	v_lshlrev_b64 v[9:10], 2, v[9:10]
	v_mov_b32_e32 v8, v15
	v_mul_f16_sdwa v15, v85, v2 dst_sel:DWORD dst_unused:UNUSED_PAD src0_sel:WORD_1 src1_sel:DWORD
	v_mul_f16_sdwa v18, v85, v1 dst_sel:DWORD dst_unused:UNUSED_PAD src0_sel:WORD_1 src1_sel:DWORD
	v_lshlrev_b64 v[7:8], 2, v[7:8]
	v_fma_f16 v15, v85, v1, -v15
	v_fmac_f16_e32 v18, v85, v2
	v_add_co_u32 v7, s0, s6, v7
	v_add_co_ci_u32_e64 v8, s0, s7, v8, s0
	v_cvt_f32_f16_e32 v15, v15
	v_and_or_b32 v4, 0x1ff, v5, v4
	v_add_co_u32 v7, s0, v7, v9
	v_mul_f64 v[1:2], v[16:17], s[4:5]
	v_add_co_ci_u32_e64 v8, s0, v8, v10, s0
	v_and_or_b32 v11, 0x1ff, v12, v11
	v_cmp_ne_u32_e64 s0, 0, v4
	v_and_or_b32 v13, 0x1ff, v14, v13
	v_cvt_f32_f16_e32 v16, v18
	v_bfe_u32 v17, v5, 20, 11
	v_bfe_u32 v19, v12, 20, 11
	v_cndmask_b32_e64 v4, 0, 1, s0
	v_cmp_ne_u32_e64 s0, 0, v11
	v_lshrrev_b32_e32 v20, 8, v14
	v_bfe_u32 v21, v14, 20, 11
	v_cvt_f64_f32_e32 v[9:10], v16
	v_lshrrev_b32_e32 v16, 8, v5
	v_cndmask_b32_e64 v11, 0, 1, s0
	v_cmp_ne_u32_e64 s0, 0, v13
	v_lshrrev_b32_e32 v18, 8, v12
	v_sub_nc_u32_e32 v22, 0x3f1, v17
	v_sub_nc_u32_e32 v25, 0x3f1, v19
	;; [unrolled: 1-line block ×3, first 2 shown]
	v_cndmask_b32_e64 v13, 0, 1, s0
	v_and_or_b32 v1, 0x1ff, v2, v1
	v_bfe_u32 v24, v2, 20, 11
	v_and_or_b32 v4, 0xffe, v16, v4
	v_med3_i32 v16, v22, 0, 13
	v_and_or_b32 v13, 0xffe, v20, v13
	v_cmp_ne_u32_e64 s0, 0, v1
	v_sub_nc_u32_e32 v22, 0x3f1, v24
	v_add_nc_u32_e32 v20, 0xfffffc10, v24
	v_and_or_b32 v11, 0xffe, v18, v11
	v_med3_i32 v18, v25, 0, 13
	v_med3_i32 v24, v26, 0, 13
	v_or_b32_e32 v25, 0x1000, v13
	v_add_nc_u32_e32 v17, 0xfffffc10, v17
	v_lshrrev_b32_e32 v23, 8, v2
	v_cndmask_b32_e64 v1, 0, 1, s0
	v_or_b32_e32 v26, 0x1000, v4
	v_cmp_ne_u32_e64 s0, 0, v4
	v_lshrrev_b32_e32 v28, v24, v25
	v_add_nc_u32_e32 v21, 0xfffffc10, v21
	v_lshl_or_b32 v27, v17, 12, v4
	v_and_or_b32 v1, 0xffe, v23, v1
	v_cndmask_b32_e64 v4, 0, 1, s0
	v_lshrrev_b32_e32 v23, v16, v26
	v_lshlrev_b32_e32 v24, v24, v28
	v_cmp_ne_u32_e64 s0, 0, v13
	v_lshl_or_b32 v30, v21, 12, v13
	v_med3_i32 v22, v22, 0, 13
	v_lshlrev_b32_e32 v16, v16, v23
	v_or_b32_e32 v29, 0x1000, v11
	v_cndmask_b32_e64 v13, 0, 1, s0
	v_cmp_ne_u32_e64 s0, v24, v25
	v_or_b32_e32 v25, 0x1000, v1
	v_lshrrev_b32_e32 v14, 16, v14
	v_lshl_or_b32 v4, v4, 9, 0x7c00
	v_lshl_or_b32 v13, v13, 9, 0x7c00
	v_cndmask_b32_e64 v24, 0, 1, s0
	v_cmp_ne_u32_e64 s0, v16, v26
	v_lshl_or_b32 v26, v20, 12, v1
	v_lshrrev_b32_e32 v5, 16, v5
	v_lshrrev_b32_e32 v12, 16, v12
	v_or_b32_e32 v24, v28, v24
	v_cndmask_b32_e64 v16, 0, 1, s0
	v_cmp_gt_i32_e64 s0, 1, v21
	v_or_b32_e32 v16, v23, v16
	v_lshrrev_b32_e32 v23, v22, v25
	v_cndmask_b32_e64 v24, v30, v24, s0
	v_cmp_gt_i32_e64 s0, 1, v17
	v_lshlrev_b32_e32 v22, v22, v23
	v_and_b32_e32 v28, 7, v24
	v_cndmask_b32_e64 v16, v27, v16, s0
	v_lshrrev_b32_e32 v24, 2, v24
	v_lshrrev_b32_e32 v27, v18, v29
	v_cmp_ne_u32_e64 s0, v22, v25
	v_cmp_eq_u32_e64 s1, 3, v28
	v_and_b32_e32 v30, 7, v16
	v_lshrrev_b32_e32 v16, 2, v16
	v_cndmask_b32_e64 v22, 0, 1, s0
	v_cmp_lt_i32_e64 s0, 5, v28
	v_cmp_lt_i32_e64 s2, 5, v30
	v_cmp_eq_u32_e64 s3, 3, v30
	v_or_b32_e32 v22, v23, v22
	s_or_b32 s0, s1, s0
	v_add_co_ci_u32_e64 v24, s0, 0, v24, s0
	s_or_b32 s0, s3, s2
	v_add_co_ci_u32_e64 v16, s0, 0, v16, s0
	v_cmp_gt_i32_e64 s0, 31, v21
	v_cndmask_b32_e64 v24, 0x7c00, v24, s0
	v_cmp_gt_i32_e64 s0, 31, v17
	v_cndmask_b32_e64 v16, 0x7c00, v16, s0
	v_cmp_eq_u32_e64 s0, 0x40f, v21
	v_cndmask_b32_e64 v13, v24, v13, s0
	v_cmp_gt_i32_e64 s0, 1, v20
	v_and_or_b32 v13, 0x8000, v14, v13
	v_cndmask_b32_e64 v21, v26, v22, s0
	v_cmp_eq_u32_e64 s0, 0x40f, v17
	v_lshlrev_b32_e32 v14, v18, v27
	v_and_b32_e32 v17, 7, v21
	v_cndmask_b32_e64 v4, v16, v4, s0
	v_cmp_ne_u32_e64 s0, v14, v29
	v_add_nc_u32_e32 v16, 0xfffffc10, v19
	v_cmp_eq_u32_e64 s1, 3, v17
	v_and_or_b32 v4, 0x8000, v5, v4
	v_and_b32_e32 v5, 0xffff, v13
	v_cndmask_b32_e64 v13, 0, 1, s0
	v_cmp_lt_i32_e64 s0, 5, v17
	v_lshrrev_b32_e32 v17, 2, v21
	v_lshl_or_b32 v18, v16, 12, v11
	v_lshl_or_b32 v14, v4, 16, v5
	v_mul_f64 v[4:5], v[9:10], s[4:5]
	s_or_b32 s0, s1, s0
	v_cvt_f64_f32_e32 v[9:10], v15
	v_add_co_ci_u32_e64 v15, s0, 0, v17, s0
	v_cmp_ne_u32_e64 s0, 0, v1
	v_or_b32_e32 v13, v27, v13
	global_store_dword v[7:8], v14, off
	v_add_nc_u32_e32 v17, 0x800, v71
	v_cndmask_b32_e64 v1, 0, 1, s0
	v_cmp_gt_i32_e64 s0, 1, v16
	v_lshl_or_b32 v1, v1, 9, 0x7c00
	v_cndmask_b32_e64 v13, v18, v13, s0
	v_cmp_gt_i32_e64 s0, 31, v20
	v_lshrrev_b32_e32 v18, 16, v2
	v_and_b32_e32 v14, 7, v13
	v_cndmask_b32_e64 v15, 0x7c00, v15, s0
	v_cmp_eq_u32_e64 s0, 0x40f, v20
	v_and_or_b32 v4, 0x1ff, v5, v4
	v_mul_f64 v[9:10], v[9:10], s[4:5]
	v_cmp_eq_u32_e64 s1, 3, v14
	v_lshrrev_b32_e32 v13, 2, v13
	v_cndmask_b32_e64 v15, v15, v1, s0
	v_cmp_lt_i32_e64 s0, 5, v14
	ds_read2_b32 v[1:2], v17 offset0:118 offset1:208
	v_cmp_ne_u32_e64 s2, 0, v4
	v_lshrrev_b32_e32 v14, 8, v5
	v_bfe_u32 v17, v5, 20, 11
	s_or_b32 s0, s1, s0
	v_and_or_b32 v15, 0x8000, v18, v15
	v_add_co_ci_u32_e64 v13, s0, 0, v13, s0
	v_cndmask_b32_e64 v4, 0, 1, s2
	v_cmp_ne_u32_e64 s0, 0, v11
	s_mul_i32 s1, s9, 0xf0
	v_and_b32_e32 v15, 0xffff, v15
	s_mul_i32 s2, s8, 0xf0
	v_and_or_b32 v4, 0xffe, v14, v4
	v_cndmask_b32_e64 v11, 0, 1, s0
	v_sub_nc_u32_e32 v14, 0x3f1, v17
	v_cmp_gt_i32_e64 s0, 31, v16
	v_and_or_b32 v9, 0x1ff, v10, v9
	v_or_b32_e32 v19, 0x1000, v4
	v_lshl_or_b32 v11, v11, 9, 0x7c00
	v_med3_i32 v14, v14, 0, 13
	v_cndmask_b32_e64 v13, 0x7c00, v13, s0
	v_cmp_eq_u32_e64 s0, 0x40f, v16
	s_waitcnt lgkmcnt(0)
	v_lshrrev_b32_e32 v20, 16, v2
	v_add_nc_u32_e32 v17, 0xfffffc10, v17
	v_cndmask_b32_e64 v11, v13, v11, s0
	v_lshrrev_b32_e32 v13, v14, v19
	v_mul_f16_sdwa v16, v83, v20 dst_sel:DWORD dst_unused:UNUSED_PAD src0_sel:WORD_1 src1_sel:DWORD
	v_cmp_ne_u32_e64 s0, 0, v9
	v_and_or_b32 v18, 0x8000, v12, v11
	v_lshlrev_b32_e32 v11, v14, v13
	v_fmac_f16_e32 v16, v83, v2
	v_cndmask_b32_e64 v9, 0, 1, s0
	v_lshrrev_b32_e32 v12, 8, v10
	v_bfe_u32 v14, v10, 20, 11
	v_cmp_ne_u32_e64 s0, v11, v19
	v_cvt_f32_f16_e32 v16, v16
	v_mul_f16_sdwa v2, v83, v2 dst_sel:DWORD dst_unused:UNUSED_PAD src0_sel:WORD_1 src1_sel:DWORD
	v_and_or_b32 v9, 0xffe, v12, v9
	v_sub_nc_u32_e32 v21, 0x3f1, v14
	v_cndmask_b32_e64 v19, 0, 1, s0
	v_cvt_f64_f32_e32 v[11:12], v16
	v_lshl_or_b32 v16, v17, 12, v4
	v_cmp_gt_i32_e64 s0, 1, v17
	v_med3_i32 v21, v21, 0, 13
	v_or_b32_e32 v13, v13, v19
	v_or_b32_e32 v19, 0x1000, v9
	v_fma_f16 v2, v83, v20, -v2
	v_lshl_or_b32 v18, v18, 16, v15
	v_lshrrev_b32_e32 v10, 16, v10
	v_cndmask_b32_e64 v13, v16, v13, s0
	v_lshrrev_b32_e32 v16, v21, v19
	s_mul_hi_u32 s0, s8, 0xf0
	v_cvt_f32_f16_e32 v2, v2
	s_add_i32 s3, s0, s1
	v_and_b32_e32 v22, 7, v13
	v_lshlrev_b32_e32 v21, v21, v16
	v_lshrrev_b32_e32 v20, 2, v13
	s_lshl_b64 s[6:7], s[2:3], 2
	v_cmp_lt_i32_e64 s0, 5, v22
	v_cmp_ne_u32_e64 s1, v21, v19
	v_add_nc_u32_e32 v19, 0xfffffc10, v14
	v_mul_f64 v[11:12], v[11:12], s[4:5]
	v_cvt_f64_f32_e32 v[13:14], v2
	v_cndmask_b32_e64 v15, 0, 1, s1
	v_cmp_eq_u32_e64 s1, 3, v22
	v_or_b32_e32 v15, v16, v15
	s_or_b32 s0, s1, s0
	v_lshl_or_b32 v16, v19, 12, v9
	v_add_co_ci_u32_e64 v2, s0, 0, v20, s0
	v_cmp_ne_u32_e64 s0, 0, v4
	v_add_nc_u32_e32 v20, 0xe00, v71
	v_cndmask_b32_e64 v4, 0, 1, s0
	v_cmp_gt_i32_e64 s0, 1, v19
	v_and_or_b32 v11, 0x1ff, v12, v11
	v_lshl_or_b32 v4, v4, 9, 0x7c00
	v_cndmask_b32_e64 v15, v16, v15, s0
	v_cmp_gt_i32_e64 s0, 31, v17
	v_mul_f64 v[13:14], v[13:14], s[4:5]
	v_cmp_ne_u32_e64 s2, 0, v11
	v_and_b32_e32 v16, 7, v15
	v_cndmask_b32_e64 v2, 0x7c00, v2, s0
	v_cmp_eq_u32_e64 s0, 0x40f, v17
	v_lshrrev_b32_e32 v17, 16, v5
	v_lshrrev_b32_e32 v15, 2, v15
	v_cmp_eq_u32_e64 s1, 3, v16
	v_cndmask_b32_e64 v11, 0, 1, s2
	v_cndmask_b32_e64 v2, v2, v4, s0
	ds_read2_b32 v[4:5], v20 offset0:64 offset1:139
	v_cmp_lt_i32_e64 s0, 5, v16
	v_lshrrev_b32_e32 v16, 8, v12
	v_bfe_u32 v20, v12, 20, 11
	v_and_or_b32 v2, 0x8000, v17, v2
	s_or_b32 s0, s1, s0
	v_and_or_b32 v11, 0xffe, v16, v11
	v_add_co_ci_u32_e64 v15, s0, 0, v15, s0
	v_cmp_ne_u32_e64 s0, 0, v9
	v_sub_nc_u32_e32 v16, 0x3f1, v20
	v_or_b32_e32 v21, 0x1000, v11
	v_and_or_b32 v13, 0x1ff, v14, v13
	v_bfe_u32 v23, v14, 20, 11
	v_cndmask_b32_e64 v9, 0, 1, s0
	v_cmp_gt_i32_e64 s0, 31, v19
	v_med3_i32 v16, v16, 0, 13
	v_add_nc_u32_e32 v20, 0xfffffc10, v20
	v_and_b32_e32 v2, 0xffff, v2
	v_lshl_or_b32 v9, v9, 9, 0x7c00
	v_cndmask_b32_e64 v15, 0x7c00, v15, s0
	s_waitcnt lgkmcnt(0)
	v_lshrrev_b32_e32 v22, 16, v4
	v_cmp_eq_u32_e64 s0, 0x40f, v19
	v_lshrrev_b32_e32 v19, v16, v21
	v_cndmask_b32_e64 v9, v15, v9, s0
	v_mul_f16_sdwa v15, v82, v22 dst_sel:DWORD dst_unused:UNUSED_PAD src0_sel:WORD_1 src1_sel:DWORD
	v_cmp_ne_u32_e64 s0, 0, v13
	v_and_or_b32 v17, 0x8000, v10, v9
	v_fmac_f16_e32 v15, v82, v4
	v_lshlrev_b32_e32 v9, v16, v19
	v_cndmask_b32_e64 v13, 0, 1, s0
	v_lshrrev_b32_e32 v16, 8, v14
	v_lshl_or_b32 v2, v17, 16, v2
	v_cvt_f32_f16_e32 v10, v15
	v_cmp_ne_u32_e64 s0, v9, v21
	v_mul_f16_sdwa v4, v82, v4 dst_sel:DWORD dst_unused:UNUSED_PAD src0_sel:WORD_1 src1_sel:DWORD
	v_and_or_b32 v13, 0xffe, v16, v13
	v_sub_nc_u32_e32 v16, 0x3f1, v23
	v_cvt_f64_f32_e32 v[9:10], v10
	v_cndmask_b32_e64 v15, 0, 1, s0
	v_add_co_u32 v7, s0, v7, s6
	v_add_co_ci_u32_e64 v8, s0, s7, v8, s0
	v_or_b32_e32 v15, v19, v15
	v_lshl_or_b32 v19, v20, 12, v11
	v_or_b32_e32 v21, 0x1000, v13
	v_med3_i32 v24, v16, 0, 13
	v_cmp_gt_i32_e64 s0, 1, v20
	v_cndmask_b32_e64 v17, v19, v15, s0
	v_lshrrev_b32_e32 v19, v24, v21
	v_add_co_u32 v15, s0, v7, s6
	v_add_co_ci_u32_e64 v16, s0, s7, v8, s0
	v_lshlrev_b32_e32 v24, v24, v19
	v_and_b32_e32 v25, 7, v17
	v_mul_f64 v[9:10], v[9:10], s[4:5]
	global_store_dword v[7:8], v18, off
	global_store_dword v[15:16], v2, off
	v_fma_f16 v2, v82, v22, -v4
	v_cmp_ne_u32_e64 s1, v24, v21
	v_cmp_lt_i32_e64 s0, 5, v25
	v_lshrrev_b32_e32 v17, 2, v17
	v_add_nc_u32_e32 v18, 0xfffffc10, v23
	v_cvt_f32_f16_e32 v2, v2
	v_cndmask_b32_e64 v4, 0, 1, s1
	v_cmp_eq_u32_e64 s1, 3, v25
	v_cvt_f64_f32_e32 v[7:8], v2
	v_or_b32_e32 v4, v19, v4
	s_or_b32 s0, s1, s0
	v_lshl_or_b32 v19, v18, 12, v13
	v_add_co_ci_u32_e64 v2, s0, 0, v17, s0
	v_cmp_ne_u32_e64 s0, 0, v11
	v_and_or_b32 v9, 0x1ff, v10, v9
	v_cndmask_b32_e64 v11, 0, 1, s0
	v_cmp_gt_i32_e64 s0, 1, v18
	v_bfe_u32 v21, v10, 20, 11
	v_lshl_or_b32 v11, v11, 9, 0x7c00
	v_cndmask_b32_e64 v4, v19, v4, s0
	v_cmp_gt_i32_e64 s0, 31, v20
	v_lshrrev_b32_e32 v19, 8, v10
	v_lshrrev_b32_e32 v10, 16, v10
	v_and_b32_e32 v17, 7, v4
	v_cndmask_b32_e64 v2, 0x7c00, v2, s0
	v_cmp_ne_u32_e64 s0, 0, v9
	v_mul_f64 v[7:8], v[7:8], s[4:5]
	v_lshrrev_b32_e32 v4, 2, v4
	v_cmp_eq_u32_e64 s1, 3, v17
	v_cndmask_b32_e64 v9, 0, 1, s0
	v_cmp_eq_u32_e64 s0, 0x40f, v20
	v_and_or_b32 v9, 0xffe, v19, v9
	v_cndmask_b32_e64 v2, v2, v11, s0
	v_cmp_lt_i32_e64 s0, 5, v17
	v_lshrrev_b32_e32 v11, 16, v12
	v_sub_nc_u32_e32 v12, 0x3f1, v21
	v_lshrrev_b32_e32 v19, 16, v6
	v_or_b32_e32 v17, 0x1000, v9
	s_or_b32 s0, s1, s0
	v_and_or_b32 v2, 0x8000, v11, v2
	v_add_co_ci_u32_e64 v4, s0, 0, v4, s0
	v_med3_i32 v12, v12, 0, 13
	v_cmp_ne_u32_e64 s0, 0, v13
	v_mul_f16_sdwa v20, v81, v19 dst_sel:DWORD dst_unused:UNUSED_PAD src0_sel:WORD_1 src1_sel:DWORD
	v_and_or_b32 v7, 0x1ff, v8, v7
	v_and_b32_e32 v2, 0xffff, v2
	v_lshrrev_b32_e32 v22, v12, v17
	v_cndmask_b32_e64 v13, 0, 1, s0
	v_cmp_gt_i32_e64 s0, 31, v18
	v_fmac_f16_e32 v20, v81, v6
	v_mul_f16_sdwa v6, v81, v6 dst_sel:DWORD dst_unused:UNUSED_PAD src0_sel:WORD_1 src1_sel:DWORD
	v_lshlrev_b32_e32 v23, v12, v22
	v_lshl_or_b32 v13, v13, 9, 0x7c00
	v_cndmask_b32_e64 v4, 0x7c00, v4, s0
	v_cmp_eq_u32_e64 s0, 0x40f, v18
	v_cvt_f32_f16_e32 v20, v20
	v_lshrrev_b32_e32 v18, 8, v8
	v_fma_f16 v6, v81, v19, -v6
	v_cndmask_b32_e64 v4, v4, v13, s0
	v_cmp_ne_u32_e64 s0, v23, v17
	v_cvt_f64_f32_e32 v[11:12], v20
	v_lshrrev_b32_e32 v13, 16, v14
	v_bfe_u32 v20, v8, 20, 11
	v_add_nc_u32_e32 v17, 0xfffffc10, v21
	v_cndmask_b32_e64 v14, 0, 1, s0
	v_cmp_ne_u32_e64 s0, 0, v7
	v_and_or_b32 v4, 0x8000, v13, v4
	v_add_nc_u32_e32 v19, 0xfffffc10, v20
	v_lshrrev_b32_e32 v8, 16, v8
	v_or_b32_e32 v13, v22, v14
	v_cndmask_b32_e64 v7, 0, 1, s0
	v_lshl_or_b32 v14, v17, 12, v9
	v_cmp_gt_i32_e64 s0, 1, v17
	v_lshl_or_b32 v2, v4, 16, v2
	v_and_or_b32 v18, 0xffe, v18, v7
	v_sub_nc_u32_e32 v7, 0x3f1, v20
	v_cndmask_b32_e64 v21, v14, v13, s0
	v_add_co_u32 v13, s0, v15, s6
	v_or_b32_e32 v22, 0x1000, v18
	v_med3_i32 v7, v7, 0, 13
	v_mul_f64 v[11:12], v[11:12], s[4:5]
	v_and_b32_e32 v4, 7, v21
	v_add_co_ci_u32_e64 v14, s0, s7, v16, s0
	v_lshrrev_b32_e32 v23, v7, v22
	v_add_nc_u32_e32 v20, 0x400, v71
	v_cmp_lt_i32_e64 s0, 5, v4
	v_cmp_eq_u32_e64 s1, 3, v4
	v_cvt_f32_f16_e32 v4, v6
	v_lshlrev_b32_e32 v7, v7, v23
	v_lshrrev_b32_e32 v6, 2, v21
	global_store_dword v[13:14], v2, off
	s_or_b32 s0, s1, s0
	v_cvt_f64_f32_e32 v[15:16], v4
	v_cmp_ne_u32_e64 s2, v7, v22
	v_add_co_ci_u32_e64 v4, s0, 0, v6, s0
	v_cmp_ne_u32_e64 s0, 0, v9
	v_cndmask_b32_e64 v7, 0, 1, s2
	v_and_or_b32 v11, 0x1ff, v12, v11
	v_cndmask_b32_e64 v9, 0, 1, s0
	v_or_b32_e32 v6, v23, v7
	v_lshl_or_b32 v7, v19, 12, v18
	v_cmp_gt_i32_e64 s0, 1, v19
	v_bfe_u32 v22, v12, 20, 11
	v_lshl_or_b32 v9, v9, 9, 0x7c00
	v_cndmask_b32_e64 v21, v7, v6, s0
	v_cmp_ne_u32_e64 s0, 0, v11
	ds_read2_b32 v[6:7], v20 offset0:59 offset1:134
	v_lshrrev_b32_e32 v20, 8, v12
	v_mul_f64 v[15:16], v[15:16], s[4:5]
	v_and_b32_e32 v23, 7, v21
	v_cndmask_b32_e64 v11, 0, 1, s0
	v_cmp_gt_i32_e64 s0, 31, v17
	v_lshrrev_b32_e32 v12, 16, v12
	v_cmp_eq_u32_e64 s1, 3, v23
	v_and_or_b32 v11, 0xffe, v20, v11
	v_cndmask_b32_e64 v4, 0x7c00, v4, s0
	v_sub_nc_u32_e32 v20, 0x3f1, v22
	v_cmp_eq_u32_e64 s0, 0x40f, v17
	v_med3_i32 v17, v20, 0, 13
	v_cndmask_b32_e64 v4, v4, v9, s0
	v_or_b32_e32 v9, 0x1000, v11
	v_cmp_lt_i32_e64 s0, 5, v23
	v_lshrrev_b32_e32 v20, 2, v21
	s_waitcnt lgkmcnt(0)
	v_lshrrev_b32_e32 v21, 16, v6
	v_and_or_b32 v4, 0x8000, v10, v4
	v_lshrrev_b32_e32 v23, v17, v9
	s_or_b32 s0, s1, s0
	v_and_or_b32 v15, 0x1ff, v16, v15
	v_add_co_ci_u32_e64 v20, s0, 0, v20, s0
	v_lshlrev_b32_e32 v17, v17, v23
	v_cmp_gt_i32_e64 s0, 31, v19
	v_mul_f16_sdwa v24, v80, v21 dst_sel:DWORD dst_unused:UNUSED_PAD src0_sel:WORD_1 src1_sel:DWORD
	v_bfe_u32 v25, v16, 20, 11
	v_and_b32_e32 v4, 0xffff, v4
	v_cndmask_b32_e64 v20, 0x7c00, v20, s0
	v_cmp_ne_u32_e64 s0, v17, v9
	v_fmac_f16_e32 v24, v80, v6
	v_add_nc_u32_e32 v17, 0xfffffc10, v22
	v_mul_f16_sdwa v6, v80, v6 dst_sel:DWORD dst_unused:UNUSED_PAD src0_sel:WORD_1 src1_sel:DWORD
	v_cndmask_b32_e64 v9, 0, 1, s0
	v_cmp_ne_u32_e64 s0, 0, v18
	v_cvt_f32_f16_e32 v10, v24
	v_lshrrev_b32_e32 v24, 8, v16
	v_fma_f16 v6, v80, v21, -v6
	v_or_b32_e32 v22, v23, v9
	v_cndmask_b32_e64 v18, 0, 1, s0
	v_cmp_ne_u32_e64 s0, 0, v15
	v_cvt_f64_f32_e32 v[9:10], v10
	v_lshl_or_b32 v23, v17, 12, v11
	v_cvt_f32_f16_e32 v6, v6
	v_lshl_or_b32 v18, v18, 9, 0x7c00
	v_cndmask_b32_e64 v15, 0, 1, s0
	v_cmp_gt_i32_e64 s0, 1, v17
	v_and_or_b32 v15, 0xffe, v24, v15
	v_cndmask_b32_e64 v22, v23, v22, s0
	v_sub_nc_u32_e32 v23, 0x3f1, v25
	v_cmp_eq_u32_e64 s0, 0x40f, v19
	v_and_b32_e32 v19, 7, v22
	v_med3_i32 v23, v23, 0, 13
	v_cndmask_b32_e64 v18, v20, v18, s0
	v_or_b32_e32 v20, 0x1000, v15
	v_cmp_lt_i32_e64 s0, 5, v19
	v_cmp_eq_u32_e64 s1, 3, v19
	v_and_or_b32 v2, 0x8000, v8, v18
	v_lshrrev_b32_e32 v18, v23, v20
	v_mul_f64 v[8:9], v[9:10], s[4:5]
	v_lshrrev_b32_e32 v10, 2, v22
	s_or_b32 s0, s1, s0
	v_lshl_or_b32 v4, v2, 16, v4
	v_lshlrev_b32_e32 v2, v23, v18
	v_add_nc_u32_e32 v19, 0xfffffc10, v25
	v_add_co_ci_u32_e64 v10, s0, 0, v10, s0
	v_cmp_ne_u32_e64 s0, v2, v20
	v_cndmask_b32_e64 v2, 0, 1, s0
	v_cmp_ne_u32_e64 s0, 0, v11
	v_or_b32_e32 v2, v18, v2
	v_cndmask_b32_e64 v11, 0, 1, s0
	v_cmp_gt_i32_e64 s0, 31, v17
	v_lshl_or_b32 v18, v19, 12, v15
	v_and_or_b32 v8, 0x1ff, v9, v8
	v_lshl_or_b32 v21, v11, 9, 0x7c00
	v_cndmask_b32_e64 v20, 0x7c00, v10, s0
	v_cmp_gt_i32_e64 s0, 1, v19
	v_cvt_f64_f32_e32 v[10:11], v6
	v_cndmask_b32_e64 v2, v18, v2, s0
	v_add_co_u32 v13, s0, v13, s6
	v_add_co_ci_u32_e64 v14, s0, s7, v14, s0
	v_cmp_eq_u32_e64 s0, 0x40f, v17
	v_and_b32_e32 v17, 7, v2
	v_lshrrev_b32_e32 v18, 8, v9
	v_lshrrev_b32_e32 v2, 2, v2
	global_store_dword v[13:14], v4, off
	v_cndmask_b32_e64 v6, v20, v21, s0
	v_cmp_ne_u32_e64 s0, 0, v8
	v_bfe_u32 v20, v9, 20, 11
	v_cmp_eq_u32_e64 s1, 3, v17
	v_and_or_b32 v6, 0x8000, v12, v6
	v_cndmask_b32_e64 v8, 0, 1, s0
	v_cmp_lt_i32_e64 s0, 5, v17
	v_sub_nc_u32_e32 v17, 0x3f1, v20
	v_mul_f64 v[10:11], v[10:11], s[4:5]
	v_add_nc_u32_e32 v20, 0xfffffc10, v20
	v_and_or_b32 v8, 0xffe, v18, v8
	s_or_b32 s0, s1, s0
	v_med3_i32 v17, v17, 0, 13
	v_add_co_ci_u32_e64 v2, s0, 0, v2, s0
	v_or_b32_e32 v21, 0x1000, v8
	v_cmp_ne_u32_e64 s0, 0, v15
	v_lshrrev_b32_e32 v18, 16, v3
	v_and_b32_e32 v6, 0xffff, v6
	s_mul_i32 s1, s9, 0xfffffc8b
	v_lshrrev_b32_e32 v23, v17, v21
	v_cndmask_b32_e64 v15, 0, 1, s0
	v_cmp_gt_i32_e64 s0, 31, v19
	v_mul_f16_sdwa v22, v79, v18 dst_sel:DWORD dst_unused:UNUSED_PAD src0_sel:WORD_1 src1_sel:DWORD
	v_lshlrev_b32_e32 v17, v17, v23
	v_lshl_or_b32 v15, v15, 9, 0x7c00
	v_cndmask_b32_e64 v2, 0x7c00, v2, s0
	v_cmp_eq_u32_e64 s0, 0x40f, v19
	v_fmac_f16_e32 v22, v79, v3
	v_lshrrev_b32_e32 v19, 16, v16
	v_and_or_b32 v10, 0x1ff, v11, v10
	v_mul_f16_sdwa v3, v79, v3 dst_sel:DWORD dst_unused:UNUSED_PAD src0_sel:WORD_1 src1_sel:DWORD
	v_cndmask_b32_e64 v2, v2, v15, s0
	v_cmp_ne_u32_e64 s0, v17, v21
	v_cvt_f32_f16_e32 v22, v22
	v_fma_f16 v3, v79, v18, -v3
	v_and_or_b32 v2, 0x8000, v19, v2
	v_cndmask_b32_e64 v17, 0, 1, s0
	v_cvt_f64_f32_e32 v[15:16], v22
	s_mul_hi_u32 s0, s8, 0xfffffc8b
	v_bfe_u32 v19, v11, 20, 11
	s_sub_i32 s2, s0, s8
	v_or_b32_e32 v12, v23, v17
	v_lshl_or_b32 v17, v20, 12, v8
	v_cmp_gt_i32_e64 s0, 1, v20
	s_add_i32 s3, s2, s1
	v_lshl_or_b32 v6, v2, 16, v6
	v_cvt_f32_f16_e32 v3, v3
	s_mul_i32 s2, s8, 0xfffffc8b
	v_cndmask_b32_e64 v12, v17, v12, s0
	v_cmp_ne_u32_e64 s0, 0, v10
	v_lshrrev_b32_e32 v17, 8, v11
	v_lshrrev_b32_e32 v11, 16, v11
	s_lshl_b64 s[8:9], s[2:3], 2
	v_and_b32_e32 v21, 7, v12
	v_cndmask_b32_e64 v10, 0, 1, s0
	v_lshrrev_b32_e32 v2, 2, v12
	v_cmp_lt_i32_e64 s0, 5, v21
	v_and_or_b32 v10, 0xffe, v17, v10
	v_sub_nc_u32_e32 v17, 0x3f1, v19
	v_mul_f64 v[15:16], v[15:16], s[4:5]
	v_cmp_eq_u32_e64 s1, 3, v21
	v_or_b32_e32 v22, 0x1000, v10
	v_med3_i32 v17, v17, 0, 13
	s_or_b32 s0, s1, s0
	v_add_co_ci_u32_e64 v2, s0, 0, v2, s0
	v_lshrrev_b32_e32 v12, v17, v22
	v_cmp_gt_i32_e64 s0, 31, v20
	v_lshlrev_b32_e32 v21, v17, v12
	v_cndmask_b32_e64 v23, 0x7c00, v2, s0
	v_cvt_f64_f32_e32 v[17:18], v3
	v_cmp_ne_u32_e64 s0, v21, v22
	v_add_nc_u32_e32 v21, 0xfffffc10, v19
	v_and_or_b32 v3, 0x1ff, v16, v15
	v_lshrrev_b32_e32 v15, 8, v16
	v_bfe_u32 v19, v16, 20, 11
	v_cndmask_b32_e64 v2, 0, 1, s0
	v_cmp_ne_u32_e64 s0, 0, v8
	v_sub_nc_u32_e32 v22, 0x3f1, v19
	v_or_b32_e32 v2, v12, v2
	v_cndmask_b32_e64 v8, 0, 1, s0
	v_cmp_ne_u32_e64 s0, 0, v3
	v_lshl_or_b32 v12, v21, 12, v10
	v_med3_i32 v22, v22, 0, 13
	v_lshl_or_b32 v8, v8, 9, 0x7c00
	v_cndmask_b32_e64 v3, 0, 1, s0
	v_cmp_gt_i32_e64 s0, 1, v21
	v_mul_f64 v[17:18], v[17:18], s[4:5]
	v_and_or_b32 v15, 0xffe, v15, v3
	v_cndmask_b32_e64 v12, v12, v2, s0
	v_add_nc_u32_e32 v2, 0xc00, v71
	v_cmp_eq_u32_e64 s0, 0x40f, v20
	v_or_b32_e32 v25, 0x1000, v15
	v_and_b32_e32 v24, 7, v12
	ds_read2_b32 v[2:3], v2 offset0:27 offset1:102
	v_cndmask_b32_e64 v20, v23, v8, s0
	v_lshrrev_b32_e32 v23, 16, v9
	v_lshrrev_b32_e32 v12, 2, v12
	v_cmp_lt_i32_e64 s0, 5, v24
	v_cmp_eq_u32_e64 s1, 3, v24
	v_lshrrev_b32_e32 v24, v22, v25
	v_and_or_b32 v23, 0x8000, v23, v20
	v_add_co_u32 v8, s2, v13, s8
	s_or_b32 s0, s1, s0
	v_lshlrev_b32_e32 v20, v22, v24
	v_add_co_ci_u32_e64 v12, s0, 0, v12, s0
	v_and_or_b32 v17, 0x1ff, v18, v17
	v_lshrrev_b32_e32 v26, 8, v18
	v_cmp_ne_u32_e64 s0, v20, v25
	v_add_nc_u32_e32 v25, 0xfffffc10, v19
	v_bfe_u32 v27, v18, 20, 11
	v_add_co_ci_u32_e64 v9, s2, s9, v14, s2
	s_waitcnt lgkmcnt(0)
	v_lshrrev_b32_e32 v22, 16, v2
	v_cndmask_b32_e64 v20, 0, 1, s0
	v_cmp_ne_u32_e64 s0, 0, v10
	v_and_b32_e32 v23, 0xffff, v23
	global_store_dword v[8:9], v6, off
	v_mul_f16_sdwa v19, v78, v22 dst_sel:DWORD dst_unused:UNUSED_PAD src0_sel:WORD_1 src1_sel:DWORD
	v_or_b32_e32 v20, v24, v20
	v_cndmask_b32_e64 v10, 0, 1, s0
	v_cmp_ne_u32_e64 s0, 0, v17
	v_lshl_or_b32 v24, v25, 12, v15
	v_fmac_f16_e32 v19, v78, v2
	v_mul_f16_sdwa v2, v78, v2 dst_sel:DWORD dst_unused:UNUSED_PAD src0_sel:WORD_1 src1_sel:DWORD
	v_lshl_or_b32 v10, v10, 9, 0x7c00
	v_cndmask_b32_e64 v17, 0, 1, s0
	v_cmp_gt_i32_e64 s0, 1, v25
	v_cvt_f32_f16_e32 v19, v19
	v_fma_f16 v2, v78, v22, -v2
	v_lshrrev_b32_e32 v18, 16, v18
	v_and_or_b32 v17, 0xffe, v26, v17
	v_cndmask_b32_e64 v24, v24, v20, s0
	v_cmp_gt_i32_e64 s0, 31, v21
	v_sub_nc_u32_e32 v26, 0x3f1, v27
	v_cvt_f64_f32_e32 v[19:20], v19
	v_or_b32_e32 v29, 0x1000, v17
	v_and_b32_e32 v28, 7, v24
	v_cndmask_b32_e64 v12, 0x7c00, v12, s0
	v_cmp_eq_u32_e64 s0, 0x40f, v21
	v_med3_i32 v26, v26, 0, 13
	v_cvt_f32_f16_e32 v2, v2
	v_cmp_eq_u32_e64 s1, 3, v28
	v_cndmask_b32_e64 v10, v12, v10, s0
	v_lshrrev_b32_e32 v12, v26, v29
	v_cmp_lt_i32_e64 s0, 5, v28
	v_and_or_b32 v21, 0x8000, v11, v10
	v_lshrrev_b32_e32 v10, 2, v24
	v_lshlrev_b32_e32 v22, v26, v12
	s_or_b32 s0, s1, s0
	v_add_nc_u32_e32 v26, 0xfffffc10, v27
	v_lshl_or_b32 v6, v21, 16, v23
	v_add_co_ci_u32_e64 v24, s0, 0, v10, s0
	v_cmp_ne_u32_e64 s0, v22, v29
	v_mul_f64 v[10:11], v[19:20], s[4:5]
	v_cvt_f64_f32_e32 v[19:20], v2
	v_cndmask_b32_e64 v22, 0, 1, s0
	v_cmp_ne_u32_e64 s0, 0, v15
	v_lshl_or_b32 v15, v26, 12, v17
	v_or_b32_e32 v12, v12, v22
	v_cndmask_b32_e64 v2, 0, 1, s0
	v_cmp_gt_i32_e64 s0, 31, v25
	v_lshl_or_b32 v2, v2, 9, 0x7c00
	v_cndmask_b32_e64 v22, 0x7c00, v24, s0
	v_cmp_gt_i32_e64 s0, 1, v26
	v_mul_f16_sdwa v24, v77, v5 dst_sel:DWORD dst_unused:UNUSED_PAD src0_sel:WORD_1 src1_sel:DWORD
	v_cndmask_b32_e64 v15, v15, v12, s0
	v_cmp_eq_u32_e64 s0, 0x40f, v25
	v_lshrrev_b32_e32 v12, 16, v16
	v_and_or_b32 v10, 0x1ff, v11, v10
	v_lshrrev_b32_e32 v14, 8, v11
	v_and_b32_e32 v4, 7, v15
	v_cndmask_b32_e64 v2, v22, v2, s0
	v_bfe_u32 v16, v11, 20, 11
	v_cmp_ne_u32_e64 s2, 0, v10
	v_cmp_lt_i32_e64 s0, 5, v4
	v_and_or_b32 v2, 0x8000, v12, v2
	v_mul_f64 v[12:13], v[19:20], s[4:5]
	v_cmp_eq_u32_e64 s1, 3, v4
	v_lshrrev_b32_e32 v4, 2, v15
	v_cndmask_b32_e64 v10, 0, 1, s2
	v_lshrrev_b32_e32 v19, 16, v5
	v_and_b32_e32 v2, 0xffff, v2
	s_or_b32 s0, s1, s0
	v_add_co_ci_u32_e64 v4, s0, 0, v4, s0
	v_and_or_b32 v10, 0xffe, v14, v10
	v_sub_nc_u32_e32 v14, 0x3f1, v16
	v_cmp_ne_u32_e64 s0, 0, v17
	v_mul_f16_sdwa v20, v77, v19 dst_sel:DWORD dst_unused:UNUSED_PAD src0_sel:WORD_1 src1_sel:DWORD
	v_fma_f16 v19, v77, v19, -v24
	v_or_b32_e32 v17, 0x1000, v10
	v_med3_i32 v14, v14, 0, 13
	v_cndmask_b32_e64 v15, 0, 1, s0
	v_cmp_gt_i32_e64 s0, 31, v26
	v_fmac_f16_e32 v20, v77, v5
	v_cvt_f32_f16_e32 v19, v19
	v_lshrrev_b32_e32 v21, v14, v17
	v_lshl_or_b32 v15, v15, 9, 0x7c00
	v_cndmask_b32_e64 v4, 0x7c00, v4, s0
	v_and_or_b32 v12, 0x1ff, v13, v12
	v_cmp_eq_u32_e64 s0, 0x40f, v26
	v_lshlrev_b32_e32 v22, v14, v21
	v_cvt_f32_f16_e32 v14, v20
	v_lshrrev_b32_e32 v20, 8, v13
	v_bfe_u32 v23, v13, 20, 11
	v_cndmask_b32_e64 v4, v4, v15, s0
	v_cmp_ne_u32_e64 s0, 0, v12
	v_cvt_f64_f32_e32 v[14:15], v14
	v_lshrrev_b32_e32 v13, 16, v13
	v_and_or_b32 v4, 0x8000, v18, v4
	v_cndmask_b32_e64 v12, 0, 1, s0
	v_cmp_ne_u32_e64 s0, v22, v17
	v_add_nc_u32_e32 v22, 0xfffffc10, v16
	v_sub_nc_u32_e32 v16, 0x3f1, v23
	v_lshl_or_b32 v2, v4, 16, v2
	v_and_or_b32 v12, 0xffe, v20, v12
	v_cndmask_b32_e64 v17, 0, 1, s0
	v_lshl_or_b32 v20, v22, 12, v10
	v_med3_i32 v16, v16, 0, 13
	v_cmp_gt_i32_e64 s0, 1, v22
	v_or_b32_e32 v17, v21, v17
	v_or_b32_e32 v21, 0x1000, v12
	v_cndmask_b32_e64 v17, v20, v17, s0
	v_lshrrev_b32_e32 v18, v16, v21
	v_add_co_u32 v8, s0, v8, s6
	v_add_co_ci_u32_e64 v9, s0, s7, v9, s0
	v_lshlrev_b32_e32 v16, v16, v18
	v_and_b32_e32 v20, 7, v17
	v_mul_f64 v[14:15], v[14:15], s[4:5]
	v_add_co_u32 v4, s0, v8, s6
	v_cmp_ne_u32_e64 s1, v16, v21
	v_add_co_ci_u32_e64 v5, s0, s7, v9, s0
	v_cmp_lt_i32_e64 s0, 5, v20
	v_add_nc_u32_e32 v21, 0xfffffc10, v23
	v_cndmask_b32_e64 v16, 0, 1, s1
	v_cmp_eq_u32_e64 s1, 3, v20
	v_lshrrev_b32_e32 v20, 2, v17
	global_store_dword v[8:9], v6, off
	global_store_dword v[4:5], v2, off
	v_lshl_or_b32 v23, v21, 12, v12
	v_or_b32_e32 v18, v18, v16
	s_or_b32 s0, s1, s0
	v_cvt_f64_f32_e32 v[16:17], v19
	v_add_co_ci_u32_e64 v19, s0, 0, v20, s0
	v_cmp_ne_u32_e64 s0, 0, v10
	v_and_or_b32 v14, 0x1ff, v15, v14
	v_cndmask_b32_e64 v10, 0, 1, s0
	v_cmp_gt_i32_e64 s0, 1, v21
	v_bfe_u32 v24, v15, 20, 11
	v_lshl_or_b32 v10, v10, 9, 0x7c00
	v_cndmask_b32_e64 v18, v23, v18, s0
	v_cmp_gt_i32_e64 s0, 31, v22
	v_lshrrev_b32_e32 v23, 8, v15
	v_lshrrev_b32_e32 v15, 16, v15
	v_and_b32_e32 v20, 7, v18
	v_cndmask_b32_e64 v19, 0x7c00, v19, s0
	v_cmp_ne_u32_e64 s0, 0, v14
	v_cmp_eq_u32_e64 s1, 3, v20
	v_cndmask_b32_e64 v14, 0, 1, s0
	v_cmp_eq_u32_e64 s0, 0x40f, v22
	v_lshrrev_b32_e32 v22, 16, v11
	v_and_or_b32 v14, 0xffe, v23, v14
	v_cndmask_b32_e64 v19, v19, v10, s0
	v_cmp_lt_i32_e64 s0, 5, v20
	v_mul_f64 v[10:11], v[16:17], s[4:5]
	v_lshrrev_b32_e32 v16, 2, v18
	v_sub_nc_u32_e32 v23, 0x3f1, v24
	v_or_b32_e32 v17, 0x1000, v14
	s_or_b32 s0, s1, s0
	v_lshrrev_b32_e32 v20, 16, v0
	v_add_co_ci_u32_e64 v16, s0, 0, v16, s0
	v_med3_i32 v18, v23, 0, 13
	v_cmp_ne_u32_e64 s0, 0, v12
	v_mul_f16_sdwa v23, v76, v20 dst_sel:DWORD dst_unused:UNUSED_PAD src0_sel:WORD_1 src1_sel:DWORD
	v_and_or_b32 v19, 0x8000, v22, v19
	v_lshrrev_b32_e32 v25, v18, v17
	v_cndmask_b32_e64 v12, 0, 1, s0
	v_cmp_gt_i32_e64 s0, 31, v21
	v_fmac_f16_e32 v23, v76, v0
	v_mul_f16_sdwa v0, v76, v0 dst_sel:DWORD dst_unused:UNUSED_PAD src0_sel:WORD_1 src1_sel:DWORD
	v_lshlrev_b32_e32 v18, v18, v25
	v_lshl_or_b32 v12, v12, 9, 0x7c00
	v_cndmask_b32_e64 v16, 0x7c00, v16, s0
	v_cmp_eq_u32_e64 s0, 0x40f, v21
	v_and_or_b32 v10, 0x1ff, v11, v10
	v_add_nc_u32_e32 v21, 0xfffffc10, v24
	v_lshrrev_b32_e32 v22, 8, v11
	v_fma_f16 v0, v76, v20, -v0
	v_cndmask_b32_e64 v12, v16, v12, s0
	v_cmp_ne_u32_e64 s0, v18, v17
	v_cvt_f32_f16_e32 v16, v23
	v_bfe_u32 v23, v11, 20, 11
	v_lshl_or_b32 v24, v21, 12, v14
	v_and_or_b32 v12, 0x8000, v13, v12
	v_cndmask_b32_e64 v18, 0, 1, s0
	v_cmp_ne_u32_e64 s0, 0, v10
	v_cvt_f64_f32_e32 v[16:17], v16
	v_and_b32_e32 v13, 0xffff, v19
	v_cvt_f32_f16_e32 v0, v0
	v_or_b32_e32 v18, v25, v18
	v_cndmask_b32_e64 v10, 0, 1, s0
	v_cmp_gt_i32_e64 s0, 1, v21
	v_lshl_or_b32 v2, v12, 16, v13
	v_and_or_b32 v10, 0xffe, v22, v10
	v_sub_nc_u32_e32 v22, 0x3f1, v23
	v_cndmask_b32_e64 v18, v24, v18, s0
	v_or_b32_e32 v19, 0x1000, v10
	v_med3_i32 v22, v22, 0, 13
	v_and_b32_e32 v24, 7, v18
	v_lshrrev_b32_e32 v12, 2, v18
	v_lshrrev_b32_e32 v6, v22, v19
	v_cmp_lt_i32_e64 s0, 5, v24
	v_cmp_eq_u32_e64 s1, 3, v24
	v_mul_f64 v[8:9], v[16:17], s[4:5]
	v_add_nc_u32_e32 v16, 0xfffffc10, v23
	v_lshlrev_b32_e32 v13, v22, v6
	s_or_b32 s0, s1, s0
	v_add_co_ci_u32_e64 v12, s0, 0, v12, s0
	v_cmp_ne_u32_e64 s0, v13, v19
	v_lshrrev_b32_e32 v19, 16, v7
	v_cndmask_b32_e64 v13, 0, 1, s0
	v_cmp_ne_u32_e64 s0, 0, v14
	v_or_b32_e32 v6, v6, v13
	v_cndmask_b32_e64 v14, 0, 1, s0
	v_cmp_gt_i32_e64 s0, 31, v21
	v_lshl_or_b32 v13, v16, 12, v10
	v_bfe_u32 v18, v9, 20, 11
	v_lshl_or_b32 v14, v14, 9, 0x7c00
	v_cndmask_b32_e64 v17, 0x7c00, v12, s0
	v_cmp_gt_i32_e64 s0, 1, v16
	v_cndmask_b32_e64 v6, v13, v6, s0
	v_cvt_f64_f32_e32 v[12:13], v0
	v_add_co_u32 v4, s0, v4, s6
	v_add_co_ci_u32_e64 v5, s0, s7, v5, s0
	v_and_or_b32 v0, 0x1ff, v9, v8
	v_cmp_eq_u32_e64 s0, 0x40f, v21
	global_store_dword v[4:5], v2, off
	v_cndmask_b32_e64 v8, v17, v14, s0
	v_cmp_ne_u32_e64 s0, 0, v0
	v_and_b32_e32 v14, 7, v6
	v_lshrrev_b32_e32 v17, 8, v9
	v_lshrrev_b32_e32 v6, 2, v6
	v_and_or_b32 v8, 0x8000, v15, v8
	v_cndmask_b32_e64 v0, 0, 1, s0
	v_cmp_lt_i32_e64 s0, 5, v14
	v_cmp_eq_u32_e64 s1, 3, v14
	v_sub_nc_u32_e32 v14, 0x3f1, v18
	v_and_b32_e32 v8, 0xffff, v8
	v_mul_f64 v[12:13], v[12:13], s[4:5]
	v_and_or_b32 v0, 0xffe, v17, v0
	v_mul_f16_sdwa v17, v75, v19 dst_sel:DWORD dst_unused:UNUSED_PAD src0_sel:WORD_1 src1_sel:DWORD
	s_or_b32 s0, s1, s0
	v_med3_i32 v14, v14, 0, 13
	v_add_co_ci_u32_e64 v6, s0, 0, v6, s0
	v_or_b32_e32 v20, 0x1000, v0
	v_cmp_ne_u32_e64 s0, 0, v10
	v_fmac_f16_e32 v17, v75, v7
	v_mul_f16_sdwa v7, v75, v7 dst_sel:DWORD dst_unused:UNUSED_PAD src0_sel:WORD_1 src1_sel:DWORD
	v_lshrrev_b32_e32 v21, v14, v20
	v_cndmask_b32_e64 v10, 0, 1, s0
	v_cmp_gt_i32_e64 s0, 31, v16
	v_cvt_f32_f16_e32 v17, v17
	v_fma_f16 v7, v75, v19, -v7
	v_lshlrev_b32_e32 v22, v14, v21
	v_lshl_or_b32 v10, v10, 9, 0x7c00
	v_cndmask_b32_e64 v6, 0x7c00, v6, s0
	v_cmp_eq_u32_e64 s0, 0x40f, v16
	v_cvt_f64_f32_e32 v[14:15], v17
	v_and_or_b32 v12, 0x1ff, v13, v12
	v_add_nc_u32_e32 v16, 0xfffffc10, v18
	v_lshrrev_b32_e32 v17, 8, v13
	v_cndmask_b32_e64 v6, v6, v10, s0
	v_cmp_ne_u32_e64 s0, v22, v20
	v_lshrrev_b32_e32 v10, 16, v11
	v_bfe_u32 v18, v13, 20, 11
	v_cvt_f32_f16_e32 v7, v7
	v_lshrrev_b32_e32 v13, 16, v13
	v_cndmask_b32_e64 v11, 0, 1, s0
	v_cmp_ne_u32_e64 s0, 0, v12
	v_and_or_b32 v6, 0x8000, v10, v6
	v_or_b32_e32 v10, v21, v11
	v_cndmask_b32_e64 v12, 0, 1, s0
	v_lshl_or_b32 v11, v16, 12, v0
	v_cmp_gt_i32_e64 s0, 1, v16
	v_lshl_or_b32 v6, v6, 16, v8
	v_and_or_b32 v2, 0xffe, v17, v12
	v_sub_nc_u32_e32 v12, 0x3f1, v18
	v_cndmask_b32_e64 v20, v11, v10, s0
	v_mul_f64 v[10:11], v[14:15], s[4:5]
	v_add_co_u32 v4, s0, v4, s6
	v_or_b32_e32 v14, 0x1000, v2
	v_med3_i32 v12, v12, 0, 13
	v_and_b32_e32 v8, 7, v20
	v_add_co_ci_u32_e64 v5, s0, s7, v5, s0
	v_lshrrev_b32_e32 v15, v12, v14
	v_cmp_lt_i32_e64 s0, 5, v8
	v_cmp_eq_u32_e64 s1, 3, v8
	global_store_dword v[4:5], v6, off
	v_lshrrev_b32_e32 v6, 2, v20
	v_lshlrev_b32_e32 v8, v12, v15
	v_add_nc_u32_e32 v12, 0xfffffc10, v18
	s_or_b32 s0, s1, s0
	v_add_co_ci_u32_e64 v6, s0, 0, v6, s0
	v_cmp_ne_u32_e64 s0, v8, v14
	v_and_or_b32 v10, 0x1ff, v11, v10
	v_lshrrev_b32_e32 v17, 8, v11
	v_bfe_u32 v18, v11, 20, 11
	v_cndmask_b32_e64 v8, 0, 1, s0
	v_cmp_gt_i32_e64 s0, 31, v16
	v_or_b32_e32 v8, v15, v8
	v_cndmask_b32_e64 v14, 0x7c00, v6, s0
	v_cmp_ne_u32_e64 s0, 0, v10
	v_cvt_f64_f32_e32 v[6:7], v7
	v_lshl_or_b32 v15, v12, 12, v2
	v_cndmask_b32_e64 v10, 0, 1, s0
	v_cmp_ne_u32_e64 s0, 0, v0
	v_and_or_b32 v10, 0xffe, v17, v10
	v_cndmask_b32_e64 v0, 0, 1, s0
	v_cmp_gt_i32_e64 s0, 1, v12
	v_lshrrev_b32_e32 v17, 16, v1
	v_or_b32_e32 v20, 0x1000, v10
	v_lshl_or_b32 v0, v0, 9, 0x7c00
	v_cndmask_b32_e64 v8, v15, v8, s0
	v_sub_nc_u32_e32 v15, 0x3f1, v18
	v_cmp_eq_u32_e64 s0, 0x40f, v16
	v_mul_f16_sdwa v21, v74, v17 dst_sel:DWORD dst_unused:UNUSED_PAD src0_sel:WORD_1 src1_sel:DWORD
	v_lshrrev_b32_e32 v16, 16, v9
	v_and_b32_e32 v19, 7, v8
	v_med3_i32 v15, v15, 0, 13
	v_cndmask_b32_e64 v0, v14, v0, s0
	v_lshrrev_b32_e32 v8, 2, v8
	v_mul_f64 v[6:7], v[6:7], s[4:5]
	v_cmp_lt_i32_e64 s0, 5, v19
	v_cmp_eq_u32_e64 s1, 3, v19
	v_lshrrev_b32_e32 v14, v15, v20
	v_fmac_f16_e32 v21, v74, v1
	v_add_nc_u32_e32 v18, 0xfffffc10, v18
	v_and_or_b32 v0, 0x8000, v16, v0
	s_or_b32 s0, s1, s0
	v_lshlrev_b32_e32 v15, v15, v14
	v_add_co_ci_u32_e64 v19, s0, 0, v8, s0
	v_cmp_ne_u32_e64 s0, 0, v2
	v_cvt_f32_f16_e32 v9, v21
	v_mul_f16_sdwa v1, v74, v1 dst_sel:DWORD dst_unused:UNUSED_PAD src0_sel:WORD_1 src1_sel:DWORD
	v_and_b32_e32 v0, 0xffff, v0
	v_cndmask_b32_e64 v2, 0, 1, s0
	v_cmp_ne_u32_e64 s0, v15, v20
	v_cvt_f64_f32_e32 v[8:9], v9
	v_fma_f16 v1, v74, v17, -v1
	v_lshl_or_b32 v2, v2, 9, 0x7c00
	v_cndmask_b32_e64 v15, 0, 1, s0
	v_cmp_gt_i32_e64 s0, 31, v12
	v_and_or_b32 v6, 0x1ff, v7, v6
	v_cvt_f32_f16_e32 v1, v1
	v_or_b32_e32 v14, v14, v15
	v_cndmask_b32_e64 v19, 0x7c00, v19, s0
	v_cmp_eq_u32_e64 s0, 0x40f, v12
	v_lshl_or_b32 v15, v18, 12, v10
	v_cndmask_b32_e64 v2, v19, v2, s0
	v_cmp_gt_i32_e64 s0, 1, v18
	v_and_or_b32 v2, 0x8000, v13, v2
	v_cndmask_b32_e64 v12, v15, v14, s0
	v_cmp_ne_u32_e64 s0, 0, v6
	v_lshrrev_b32_e32 v14, 8, v7
	v_bfe_u32 v15, v7, 20, 11
	v_mul_f64 v[8:9], v[8:9], s[4:5]
	v_and_b32_e32 v19, 7, v12
	v_cndmask_b32_e64 v6, 0, 1, s0
	v_lshrrev_b32_e32 v12, 2, v12
	v_lshl_or_b32 v17, v2, 16, v0
	v_cmp_lt_i32_e64 s0, 5, v19
	v_and_or_b32 v6, 0xffe, v14, v6
	v_sub_nc_u32_e32 v14, 0x3f1, v15
	v_cmp_eq_u32_e64 s1, 3, v19
	v_lshrrev_b32_e32 v19, 16, v3
	v_or_b32_e32 v13, 0x1000, v6
	v_med3_i32 v14, v14, 0, 13
	s_or_b32 s0, s1, s0
	v_mul_f16_sdwa v20, v73, v19 dst_sel:DWORD dst_unused:UNUSED_PAD src0_sel:WORD_1 src1_sel:DWORD
	v_add_co_ci_u32_e64 v12, s0, 0, v12, s0
	v_lshrrev_b32_e32 v16, v14, v13
	v_cmp_gt_i32_e64 s0, 31, v18
	v_fmac_f16_e32 v20, v73, v3
	v_mul_f16_sdwa v3, v73, v3 dst_sel:DWORD dst_unused:UNUSED_PAD src0_sel:WORD_1 src1_sel:DWORD
	v_and_or_b32 v8, 0x1ff, v9, v8
	v_lshlrev_b32_e32 v0, v14, v16
	v_cndmask_b32_e64 v2, 0x7c00, v12, s0
	v_lshrrev_b32_e32 v14, 8, v9
	v_fma_f16 v3, v73, v19, -v3
	v_cmp_ne_u32_e64 s0, v0, v13
	v_cvt_f64_f32_e32 v[0:1], v1
	v_add_nc_u32_e32 v13, 0xfffffc10, v15
	v_bfe_u32 v15, v9, 20, 11
	v_cndmask_b32_e64 v12, 0, 1, s0
	v_cmp_ne_u32_e64 s0, 0, v8
	v_or_b32_e32 v12, v16, v12
	v_cndmask_b32_e64 v8, 0, 1, s0
	v_cmp_ne_u32_e64 s0, 0, v10
	v_lshl_or_b32 v16, v13, 12, v6
	v_and_or_b32 v8, 0xffe, v14, v8
	v_cndmask_b32_e64 v10, 0, 1, s0
	v_sub_nc_u32_e32 v14, 0x3f1, v15
	v_cmp_gt_i32_e64 s0, 1, v13
	v_lshl_or_b32 v10, v10, 9, 0x7c00
	v_med3_i32 v14, v14, 0, 13
	v_cndmask_b32_e64 v12, v16, v12, s0
	v_or_b32_e32 v16, 0x1000, v8
	v_cmp_eq_u32_e64 s0, 0x40f, v18
	v_mul_f64 v[0:1], v[0:1], s[4:5]
	v_lshrrev_b32_e32 v18, v14, v16
	v_cndmask_b32_e64 v2, v2, v10, s0
	v_lshrrev_b32_e32 v10, 16, v11
	v_and_b32_e32 v11, 7, v12
	v_add_co_u32 v4, s0, v4, s8
	v_add_co_ci_u32_e64 v5, s0, s9, v5, s0
	v_and_or_b32 v2, 0x8000, v10, v2
	v_lshlrev_b32_e32 v10, v14, v18
	v_cmp_lt_i32_e64 s0, 5, v11
	v_cmp_eq_u32_e64 s1, 3, v11
	v_lshrrev_b32_e32 v11, 2, v12
	v_add_nc_u32_e32 v12, 0xfffffc10, v15
	v_cmp_ne_u32_e64 s2, v10, v16
	v_cvt_f32_f16_e32 v14, v20
	s_or_b32 s0, s1, s0
	v_and_b32_e32 v2, 0xffff, v2
	v_add_co_ci_u32_e64 v15, s0, 0, v11, s0
	v_cndmask_b32_e64 v10, 0, 1, s2
	v_cmp_ne_u32_e64 s0, 0, v6
	v_and_or_b32 v0, 0x1ff, v1, v0
	v_or_b32_e32 v16, v18, v10
	v_cvt_f64_f32_e32 v[10:11], v14
	v_lshl_or_b32 v14, v12, 12, v8
	v_cndmask_b32_e64 v6, 0, 1, s0
	v_cmp_gt_i32_e64 s0, 1, v12
	v_bfe_u32 v18, v1, 20, 11
	v_lshl_or_b32 v6, v6, 9, 0x7c00
	v_cndmask_b32_e64 v14, v14, v16, s0
	v_cmp_ne_u32_e64 s0, 0, v0
	v_lshrrev_b32_e32 v16, 8, v1
	v_and_b32_e32 v20, 7, v14
	v_cndmask_b32_e64 v0, 0, 1, s0
	v_cmp_gt_i32_e64 s0, 31, v13
	v_cmp_eq_u32_e64 s1, 3, v20
	v_and_or_b32 v0, 0xffe, v16, v0
	v_cndmask_b32_e64 v15, 0x7c00, v15, s0
	v_cmp_eq_u32_e64 s0, 0x40f, v13
	v_lshrrev_b32_e32 v16, 16, v7
	v_or_b32_e32 v21, 0x1000, v0
	v_cndmask_b32_e64 v13, v15, v6, s0
	v_sub_nc_u32_e32 v15, 0x3f1, v18
	v_cmp_lt_i32_e64 s0, 5, v20
	v_mul_f64 v[6:7], v[10:11], s[4:5]
	v_and_or_b32 v11, 0x8000, v16, v13
	v_lshrrev_b32_e32 v13, 2, v14
	v_med3_i32 v10, v15, 0, 13
	s_or_b32 s0, s1, s0
	v_add_nc_u32_e32 v16, 0xfffffc10, v18
	v_lshl_or_b32 v15, v11, 16, v2
	v_add_co_ci_u32_e64 v13, s0, 0, v13, s0
	v_lshrrev_b32_e32 v14, v10, v21
	v_cmp_ne_u32_e64 s0, 0, v8
	v_lshl_or_b32 v11, v16, 12, v0
	v_lshrrev_b32_e32 v18, 16, v9
	v_lshlrev_b32_e32 v2, v10, v14
	v_cndmask_b32_e64 v8, 0, 1, s0
	v_cmp_gt_i32_e64 s0, 31, v12
	v_lshl_or_b32 v8, v8, 9, 0x7c00
	v_cndmask_b32_e64 v10, 0x7c00, v13, s0
	v_cmp_ne_u32_e64 s0, v2, v21
	ds_read_b32 v13, v71 offset:4440
	v_and_or_b32 v6, 0x1ff, v7, v6
	v_cndmask_b32_e64 v2, 0, 1, s0
	v_cmp_eq_u32_e64 s0, 0x40f, v12
	v_lshrrev_b32_e32 v12, 8, v7
	v_cndmask_b32_e64 v10, v10, v8, s0
	v_cmp_ne_u32_e64 s0, 0, v6
	v_or_b32_e32 v8, v14, v2
	v_cvt_f32_f16_e32 v2, v3
	v_bfe_u32 v14, v7, 20, 11
	v_and_or_b32 v18, 0x8000, v18, v10
	v_cndmask_b32_e64 v6, 0, 1, s0
	v_cmp_gt_i32_e64 s0, 1, v16
	v_cvt_f64_f32_e32 v[2:3], v2
	v_lshrrev_b32_e32 v7, 16, v7
	v_and_or_b32 v6, 0xffe, v12, v6
	v_cndmask_b32_e64 v11, v11, v8, s0
	v_sub_nc_u32_e32 v8, 0x3f1, v14
	s_waitcnt lgkmcnt(0)
	v_lshrrev_b32_e32 v12, 16, v13
	v_add_nc_u32_e32 v14, 0xfffffc10, v14
	v_or_b32_e32 v20, 0x1000, v6
	v_and_b32_e32 v19, 7, v11
	v_med3_i32 v21, v8, 0, 13
	v_mul_f16_sdwa v22, v72, v12 dst_sel:DWORD dst_unused:UNUSED_PAD src0_sel:WORD_1 src1_sel:DWORD
	v_add_co_u32 v8, s0, v4, s6
	v_add_co_ci_u32_e64 v9, s0, s7, v5, s0
	v_lshrrev_b32_e32 v23, v21, v20
	v_fmac_f16_e32 v22, v72, v13
	v_cmp_lt_i32_e64 s0, 5, v19
	v_cmp_eq_u32_e64 s1, 3, v19
	v_lshrrev_b32_e32 v10, 2, v11
	v_lshlrev_b32_e32 v19, v21, v23
	v_cvt_f32_f16_e32 v11, v22
	v_mul_f64 v[2:3], v[2:3], s[4:5]
	s_or_b32 s0, s1, s0
	v_mul_f16_sdwa v13, v72, v13 dst_sel:DWORD dst_unused:UNUSED_PAD src0_sel:WORD_1 src1_sel:DWORD
	v_add_co_ci_u32_e64 v21, s0, 0, v10, s0
	v_cmp_ne_u32_e64 s0, v19, v20
	v_cvt_f64_f32_e32 v[10:11], v11
	v_lshl_or_b32 v20, v14, 12, v6
	v_fma_f16 v12, v72, v12, -v13
	v_cndmask_b32_e64 v19, 0, 1, s0
	v_cmp_ne_u32_e64 s0, 0, v0
	v_cvt_f32_f16_e32 v12, v12
	v_or_b32_e32 v19, v23, v19
	v_cndmask_b32_e64 v0, 0, 1, s0
	v_cmp_gt_i32_e64 s0, 31, v16
	v_lshl_or_b32 v0, v0, 9, 0x7c00
	v_cndmask_b32_e64 v13, 0x7c00, v21, s0
	v_cmp_gt_i32_e64 s0, 1, v14
	v_and_or_b32 v2, 0x1ff, v3, v2
	v_bfe_u32 v21, v3, 20, 11
	v_cndmask_b32_e64 v19, v20, v19, s0
	v_cmp_eq_u32_e64 s0, 0x40f, v16
	v_mul_f64 v[10:11], v[10:11], s[4:5]
	v_lshrrev_b32_e32 v16, 16, v1
	v_lshrrev_b32_e32 v20, 8, v3
	;; [unrolled: 1-line block ×3, first 2 shown]
	v_cndmask_b32_e64 v13, v13, v0, s0
	v_cvt_f64_f32_e32 v[0:1], v12
	v_cmp_ne_u32_e64 s0, 0, v2
	v_and_b32_e32 v12, 7, v19
	v_and_or_b32 v13, 0x8000, v16, v13
	v_and_b32_e32 v16, 0xffff, v18
	v_cndmask_b32_e64 v2, 0, 1, s0
	v_cmp_lt_i32_e64 s0, 5, v12
	v_cmp_eq_u32_e64 s1, 3, v12
	v_sub_nc_u32_e32 v18, 0x3f1, v21
	v_lshl_or_b32 v12, v13, 16, v16
	v_lshrrev_b32_e32 v13, 2, v19
	v_and_or_b32 v2, 0xffe, v20, v2
	s_or_b32 s0, s1, s0
	v_med3_i32 v18, v18, 0, 13
	v_add_co_ci_u32_e64 v13, s0, 0, v13, s0
	v_or_b32_e32 v16, 0x1000, v2
	v_cmp_ne_u32_e64 s0, 0, v6
	v_and_or_b32 v10, 0x1ff, v11, v10
	v_lshrrev_b32_e32 v20, 8, v11
	v_mul_f64 v[0:1], v[0:1], s[4:5]
	v_lshrrev_b32_e32 v19, v18, v16
	v_cndmask_b32_e64 v6, 0, 1, s0
	v_cmp_gt_i32_e64 s0, 31, v14
	v_bfe_u32 v22, v11, 20, 11
	v_lshrrev_b32_e32 v11, 16, v11
	v_lshlrev_b32_e32 v18, v18, v19
	v_lshl_or_b32 v6, v6, 9, 0x7c00
	v_cndmask_b32_e64 v13, 0x7c00, v13, s0
	v_cmp_ne_u32_e64 s0, 0, v10
	v_cndmask_b32_e64 v10, 0, 1, s0
	v_cmp_ne_u32_e64 s0, v18, v16
	v_add_nc_u32_e32 v18, 0xfffffc10, v21
	v_and_or_b32 v10, 0xffe, v20, v10
	v_cndmask_b32_e64 v16, 0, 1, s0
	v_sub_nc_u32_e32 v20, 0x3f1, v22
	v_cmp_eq_u32_e64 s0, 0x40f, v14
	v_lshl_or_b32 v14, v18, 12, v2
	v_and_or_b32 v0, 0x1ff, v1, v0
	v_bfe_u32 v21, v1, 20, 11
	v_cndmask_b32_e64 v6, v13, v6, s0
	v_or_b32_e32 v13, v19, v16
	v_or_b32_e32 v16, 0x1000, v10
	v_med3_i32 v19, v20, 0, 13
	v_cmp_gt_i32_e64 s0, 1, v18
	v_lshrrev_b32_e32 v20, 8, v1
	v_and_or_b32 v6, 0x8000, v7, v6
	v_sub_nc_u32_e32 v7, 0x3f1, v21
	v_lshrrev_b32_e32 v1, 16, v1
	v_cndmask_b32_e64 v13, v14, v13, s0
	v_lshrrev_b32_e32 v14, v19, v16
	v_cmp_ne_u32_e64 s0, 0, v0
	v_med3_i32 v7, v7, 0, 13
	v_and_b32_e32 v6, 0xffff, v6
	v_and_b32_e32 v23, 7, v13
	v_lshlrev_b32_e32 v19, v19, v14
	v_cndmask_b32_e64 v0, 0, 1, s0
	v_lshrrev_b32_e32 v13, 2, v13
	v_cmp_lt_i32_e64 s0, 5, v23
	v_cmp_ne_u32_e64 s1, v19, v16
	v_and_or_b32 v0, 0xffe, v20, v0
	v_add_nc_u32_e32 v20, 0xfffffc10, v22
	v_cndmask_b32_e64 v16, 0, 1, s1
	v_cmp_eq_u32_e64 s1, 3, v23
	v_or_b32_e32 v19, 0x1000, v0
	v_lshl_or_b32 v22, v20, 12, v10
	v_or_b32_e32 v14, v14, v16
	s_or_b32 s0, s1, s0
	v_lshrrev_b32_e32 v16, v7, v19
	v_add_co_ci_u32_e64 v13, s0, 0, v13, s0
	v_cmp_gt_i32_e64 s0, 1, v20
	v_lshlrev_b32_e32 v7, v7, v16
	v_cndmask_b32_e64 v14, v22, v14, s0
	v_cmp_ne_u32_e64 s0, 0, v2
	v_cndmask_b32_e64 v2, 0, 1, s0
	v_cmp_ne_u32_e64 s0, v7, v19
	v_add_nc_u32_e32 v19, 0xfffffc10, v21
	v_and_b32_e32 v21, 7, v14
	v_lshl_or_b32 v2, v2, 9, 0x7c00
	v_cndmask_b32_e64 v7, 0, 1, s0
	v_cmp_gt_i32_e64 s0, 31, v18
	v_cmp_gt_i32_e64 s2, 1, v19
	v_cmp_eq_u32_e64 s1, 3, v21
	v_or_b32_e32 v7, v16, v7
	v_lshl_or_b32 v16, v19, 12, v0
	v_cndmask_b32_e64 v13, 0x7c00, v13, s0
	v_cmp_lt_i32_e64 s0, 5, v21
	v_cndmask_b32_e64 v7, v16, v7, s2
	v_cmp_eq_u32_e64 s2, 0x40f, v18
	s_or_b32 s0, s1, s0
	v_cndmask_b32_e64 v2, v13, v2, s2
	v_lshrrev_b32_e32 v13, 2, v14
	v_and_b32_e32 v14, 7, v7
	v_lshrrev_b32_e32 v7, 2, v7
	v_cmp_gt_i32_e64 s2, 31, v20
	v_add_co_ci_u32_e64 v13, s0, 0, v13, s0
	v_cmp_ne_u32_e64 s0, 0, v10
	v_cmp_eq_u32_e64 s1, 3, v14
	v_cndmask_b32_e64 v13, 0x7c00, v13, s2
	v_cndmask_b32_e64 v10, 0, 1, s0
	v_cmp_lt_i32_e64 s0, 5, v14
	v_lshl_or_b32 v10, v10, 9, 0x7c00
	s_or_b32 s0, s1, s0
	v_add_co_ci_u32_e64 v7, s0, 0, v7, s0
	v_cmp_ne_u32_e64 s0, 0, v0
	v_cndmask_b32_e64 v0, 0, 1, s0
	v_cmp_eq_u32_e64 s0, 0x40f, v20
	v_lshl_or_b32 v0, v0, 9, 0x7c00
	v_cndmask_b32_e64 v10, v13, v10, s0
	v_cmp_gt_i32_e64 s0, 31, v19
	v_and_or_b32 v13, 0x8000, v3, v2
	v_and_or_b32 v10, 0x8000, v11, v10
	v_cndmask_b32_e64 v7, 0x7c00, v7, s0
	v_cmp_eq_u32_e64 s0, 0x40f, v19
	v_lshl_or_b32 v11, v13, 16, v6
	v_cndmask_b32_e64 v0, v7, v0, s0
	v_add_co_u32 v2, s0, v8, s6
	v_add_co_ci_u32_e64 v3, s0, s7, v9, s0
	v_and_or_b32 v0, 0x8000, v1, v0
	v_and_b32_e32 v1, 0xffff, v10
	v_add_co_u32 v6, s0, v2, s6
	v_add_co_ci_u32_e64 v7, s0, s7, v3, s0
	v_lshl_or_b32 v10, v0, 16, v1
	v_add_co_u32 v0, s0, v6, s6
	v_add_co_ci_u32_e64 v1, s0, s7, v7, s0
	global_store_dword v[4:5], v17, off
	global_store_dword v[8:9], v15, off
	global_store_dword v[2:3], v12, off
	global_store_dword v[6:7], v11, off
	global_store_dword v[0:1], v10, off
	s_and_b32 exec_lo, exec_lo, vcc_lo
	s_cbranch_execz .LBB0_31
; %bb.30:
	global_load_dword v2, v[35:36], off offset:900
	ds_read_b32 v3, v88 offset:900
	s_waitcnt lgkmcnt(0)
	v_lshrrev_b32_e32 v4, 16, v3
	s_waitcnt vmcnt(0)
	v_mul_f16_sdwa v5, v4, v2 dst_sel:DWORD dst_unused:UNUSED_PAD src0_sel:DWORD src1_sel:WORD_1
	v_mul_f16_sdwa v6, v3, v2 dst_sel:DWORD dst_unused:UNUSED_PAD src0_sel:DWORD src1_sel:WORD_1
	v_fmac_f16_e32 v5, v3, v2
	v_fma_f16 v2, v2, v4, -v6
	v_cvt_f32_f16_e32 v3, v5
	v_cvt_f32_f16_e32 v4, v2
	v_cvt_f64_f32_e32 v[2:3], v3
	v_cvt_f64_f32_e32 v[4:5], v4
	v_mul_f64 v[2:3], v[2:3], s[4:5]
	v_mul_f64 v[4:5], v[4:5], s[4:5]
	v_and_or_b32 v2, 0x1ff, v3, v2
	v_and_or_b32 v4, 0x1ff, v5, v4
	v_lshrrev_b32_e32 v6, 8, v3
	v_bfe_u32 v7, v3, 20, 11
	v_lshrrev_b32_e32 v8, 8, v5
	v_cmp_ne_u32_e32 vcc_lo, 0, v2
	v_bfe_u32 v9, v5, 20, 11
	v_lshrrev_b32_e32 v3, 16, v3
	v_sub_nc_u32_e32 v10, 0x3f1, v7
	v_add_nc_u32_e32 v7, 0xfffffc10, v7
	v_cndmask_b32_e64 v2, 0, 1, vcc_lo
	v_cmp_ne_u32_e32 vcc_lo, 0, v4
	v_lshrrev_b32_e32 v5, 16, v5
	v_and_or_b32 v2, 0xffe, v6, v2
	v_cndmask_b32_e64 v4, 0, 1, vcc_lo
	v_sub_nc_u32_e32 v6, 0x3f1, v9
	v_add_nc_u32_e32 v9, 0xfffffc10, v9
	v_and_or_b32 v4, 0xffe, v8, v4
	v_med3_i32 v8, v10, 0, 13
	v_or_b32_e32 v10, 0x1000, v2
	v_med3_i32 v6, v6, 0, 13
	v_or_b32_e32 v11, 0x1000, v4
	v_lshrrev_b32_e32 v12, v8, v10
	v_lshrrev_b32_e32 v13, v6, v11
	v_lshlrev_b32_e32 v8, v8, v12
	v_lshlrev_b32_e32 v6, v6, v13
	v_cmp_ne_u32_e32 vcc_lo, v8, v10
	v_lshl_or_b32 v10, v7, 12, v2
	v_cndmask_b32_e64 v8, 0, 1, vcc_lo
	v_cmp_ne_u32_e32 vcc_lo, v6, v11
	v_lshl_or_b32 v11, v9, 12, v4
	v_or_b32_e32 v8, v12, v8
	v_cndmask_b32_e64 v6, 0, 1, vcc_lo
	v_cmp_gt_i32_e32 vcc_lo, 1, v7
	v_or_b32_e32 v6, v13, v6
	v_cndmask_b32_e32 v8, v10, v8, vcc_lo
	v_cmp_gt_i32_e32 vcc_lo, 1, v9
	v_and_b32_e32 v10, 7, v8
	v_cndmask_b32_e32 v6, v11, v6, vcc_lo
	v_cmp_ne_u32_e32 vcc_lo, 0, v2
	v_lshrrev_b32_e32 v8, 2, v8
	v_cmp_eq_u32_e64 s0, 3, v10
	v_and_b32_e32 v11, 7, v6
	v_cndmask_b32_e64 v2, 0, 1, vcc_lo
	v_cmp_ne_u32_e32 vcc_lo, 0, v4
	v_lshrrev_b32_e32 v6, 2, v6
	v_cmp_lt_i32_e64 s1, 5, v11
	v_cmp_eq_u32_e64 s2, 3, v11
	v_cndmask_b32_e64 v4, 0, 1, vcc_lo
	v_cmp_lt_i32_e32 vcc_lo, 5, v10
	v_lshl_or_b32 v2, v2, 9, 0x7c00
	v_lshl_or_b32 v4, v4, 9, 0x7c00
	s_or_b32 vcc_lo, s0, vcc_lo
	v_add_co_ci_u32_e32 v8, vcc_lo, 0, v8, vcc_lo
	s_or_b32 vcc_lo, s2, s1
	v_add_co_ci_u32_e32 v6, vcc_lo, 0, v6, vcc_lo
	v_cmp_gt_i32_e32 vcc_lo, 31, v7
	v_cndmask_b32_e32 v8, 0x7c00, v8, vcc_lo
	v_cmp_gt_i32_e32 vcc_lo, 31, v9
	v_cndmask_b32_e32 v6, 0x7c00, v6, vcc_lo
	v_cmp_eq_u32_e32 vcc_lo, 0x40f, v7
	v_cndmask_b32_e32 v2, v8, v2, vcc_lo
	v_cmp_eq_u32_e32 vcc_lo, 0x40f, v9
	v_and_or_b32 v2, 0x8000, v3, v2
	v_cndmask_b32_e32 v4, v6, v4, vcc_lo
	v_add_co_u32 v0, vcc_lo, v0, s8
	v_add_co_ci_u32_e32 v1, vcc_lo, s9, v1, vcc_lo
	v_and_or_b32 v3, 0x8000, v5, v4
	v_and_b32_e32 v2, 0xffff, v2
	v_lshl_or_b32 v2, v3, 16, v2
	global_store_dword v[0:1], v2, off
	global_load_dword v4, v[35:36], off offset:1860
	v_add_nc_u32_e32 v2, 0x740, v71
	ds_read2_b32 v[2:3], v2 offset0:1 offset1:241
	s_waitcnt lgkmcnt(0)
	v_lshrrev_b32_e32 v5, 16, v2
	s_waitcnt vmcnt(0)
	v_mul_f16_sdwa v6, v5, v4 dst_sel:DWORD dst_unused:UNUSED_PAD src0_sel:DWORD src1_sel:WORD_1
	v_mul_f16_sdwa v7, v2, v4 dst_sel:DWORD dst_unused:UNUSED_PAD src0_sel:DWORD src1_sel:WORD_1
	v_fmac_f16_e32 v6, v2, v4
	v_fma_f16 v2, v4, v5, -v7
	v_cvt_f32_f16_e32 v4, v6
	v_cvt_f32_f16_e32 v2, v2
	v_cvt_f64_f32_e32 v[4:5], v4
	v_cvt_f64_f32_e32 v[6:7], v2
	v_mul_f64 v[4:5], v[4:5], s[4:5]
	v_mul_f64 v[6:7], v[6:7], s[4:5]
	v_and_or_b32 v2, 0x1ff, v5, v4
	v_and_or_b32 v6, 0x1ff, v7, v6
	v_lshrrev_b32_e32 v4, 8, v5
	v_bfe_u32 v8, v5, 20, 11
	v_lshrrev_b32_e32 v9, 8, v7
	v_cmp_ne_u32_e32 vcc_lo, 0, v2
	v_bfe_u32 v10, v7, 20, 11
	v_lshrrev_b32_e32 v5, 16, v5
	v_sub_nc_u32_e32 v11, 0x3f1, v8
	v_add_nc_u32_e32 v8, 0xfffffc10, v8
	v_cndmask_b32_e64 v2, 0, 1, vcc_lo
	v_cmp_ne_u32_e32 vcc_lo, 0, v6
	v_lshrrev_b32_e32 v7, 16, v7
	v_and_or_b32 v2, 0xffe, v4, v2
	v_cndmask_b32_e64 v6, 0, 1, vcc_lo
	v_sub_nc_u32_e32 v4, 0x3f1, v10
	v_add_nc_u32_e32 v10, 0xfffffc10, v10
	v_and_or_b32 v6, 0xffe, v9, v6
	v_med3_i32 v9, v11, 0, 13
	v_or_b32_e32 v11, 0x1000, v2
	v_med3_i32 v4, v4, 0, 13
	v_or_b32_e32 v12, 0x1000, v6
	v_lshrrev_b32_e32 v13, v9, v11
	v_lshrrev_b32_e32 v14, v4, v12
	v_lshlrev_b32_e32 v9, v9, v13
	v_lshlrev_b32_e32 v4, v4, v14
	v_cmp_ne_u32_e32 vcc_lo, v9, v11
	v_lshl_or_b32 v11, v8, 12, v2
	v_cndmask_b32_e64 v9, 0, 1, vcc_lo
	v_cmp_ne_u32_e32 vcc_lo, v4, v12
	v_lshl_or_b32 v12, v10, 12, v6
	v_or_b32_e32 v9, v13, v9
	v_cndmask_b32_e64 v4, 0, 1, vcc_lo
	v_cmp_gt_i32_e32 vcc_lo, 1, v8
	v_or_b32_e32 v4, v14, v4
	v_cndmask_b32_e32 v9, v11, v9, vcc_lo
	v_cmp_gt_i32_e32 vcc_lo, 1, v10
	v_and_b32_e32 v11, 7, v9
	v_cndmask_b32_e32 v4, v12, v4, vcc_lo
	v_cmp_ne_u32_e32 vcc_lo, 0, v2
	v_lshrrev_b32_e32 v9, 2, v9
	v_cmp_eq_u32_e64 s0, 3, v11
	v_and_b32_e32 v12, 7, v4
	v_cndmask_b32_e64 v2, 0, 1, vcc_lo
	v_cmp_ne_u32_e32 vcc_lo, 0, v6
	v_lshrrev_b32_e32 v4, 2, v4
	v_cmp_lt_i32_e64 s1, 5, v12
	v_cmp_eq_u32_e64 s2, 3, v12
	v_cndmask_b32_e64 v6, 0, 1, vcc_lo
	v_cmp_lt_i32_e32 vcc_lo, 5, v11
	v_lshl_or_b32 v2, v2, 9, 0x7c00
	v_lshl_or_b32 v6, v6, 9, 0x7c00
	s_or_b32 vcc_lo, s0, vcc_lo
	v_add_co_ci_u32_e32 v9, vcc_lo, 0, v9, vcc_lo
	s_or_b32 vcc_lo, s2, s1
	v_add_co_ci_u32_e32 v4, vcc_lo, 0, v4, vcc_lo
	v_cmp_gt_i32_e32 vcc_lo, 31, v8
	v_cndmask_b32_e32 v9, 0x7c00, v9, vcc_lo
	v_cmp_gt_i32_e32 vcc_lo, 31, v10
	v_cndmask_b32_e32 v4, 0x7c00, v4, vcc_lo
	v_cmp_eq_u32_e32 vcc_lo, 0x40f, v8
	v_cndmask_b32_e32 v2, v9, v2, vcc_lo
	v_cmp_eq_u32_e32 vcc_lo, 0x40f, v10
	v_and_or_b32 v2, 0x8000, v5, v2
	v_cndmask_b32_e32 v4, v4, v6, vcc_lo
	v_add_co_u32 v0, vcc_lo, v0, s6
	v_add_co_ci_u32_e32 v1, vcc_lo, s7, v1, vcc_lo
	v_and_or_b32 v4, 0x8000, v7, v4
	v_and_b32_e32 v2, 0xffff, v2
	v_lshl_or_b32 v2, v4, 16, v2
	v_lshrrev_b32_e32 v4, 16, v3
	global_store_dword v[0:1], v2, off
	global_load_dword v2, v[31:32], off offset:772
	s_waitcnt vmcnt(0)
	v_mul_f16_sdwa v5, v4, v2 dst_sel:DWORD dst_unused:UNUSED_PAD src0_sel:DWORD src1_sel:WORD_1
	v_mul_f16_sdwa v6, v3, v2 dst_sel:DWORD dst_unused:UNUSED_PAD src0_sel:DWORD src1_sel:WORD_1
	v_fmac_f16_e32 v5, v3, v2
	v_fma_f16 v2, v2, v4, -v6
	v_cvt_f32_f16_e32 v3, v5
	v_cvt_f32_f16_e32 v4, v2
	v_cvt_f64_f32_e32 v[2:3], v3
	v_cvt_f64_f32_e32 v[4:5], v4
	v_mul_f64 v[2:3], v[2:3], s[4:5]
	v_mul_f64 v[4:5], v[4:5], s[4:5]
	v_and_or_b32 v2, 0x1ff, v3, v2
	v_and_or_b32 v4, 0x1ff, v5, v4
	v_lshrrev_b32_e32 v6, 8, v3
	v_bfe_u32 v7, v3, 20, 11
	v_lshrrev_b32_e32 v8, 8, v5
	v_cmp_ne_u32_e32 vcc_lo, 0, v2
	v_bfe_u32 v9, v5, 20, 11
	v_lshrrev_b32_e32 v3, 16, v3
	v_sub_nc_u32_e32 v10, 0x3f1, v7
	v_add_nc_u32_e32 v7, 0xfffffc10, v7
	v_cndmask_b32_e64 v2, 0, 1, vcc_lo
	v_cmp_ne_u32_e32 vcc_lo, 0, v4
	v_lshrrev_b32_e32 v5, 16, v5
	v_and_or_b32 v2, 0xffe, v6, v2
	v_cndmask_b32_e64 v4, 0, 1, vcc_lo
	v_sub_nc_u32_e32 v6, 0x3f1, v9
	v_add_nc_u32_e32 v9, 0xfffffc10, v9
	v_and_or_b32 v4, 0xffe, v8, v4
	v_med3_i32 v8, v10, 0, 13
	v_or_b32_e32 v10, 0x1000, v2
	v_med3_i32 v6, v6, 0, 13
	v_or_b32_e32 v11, 0x1000, v4
	v_lshrrev_b32_e32 v12, v8, v10
	v_lshrrev_b32_e32 v13, v6, v11
	v_lshlrev_b32_e32 v8, v8, v12
	v_lshlrev_b32_e32 v6, v6, v13
	v_cmp_ne_u32_e32 vcc_lo, v8, v10
	v_lshl_or_b32 v10, v7, 12, v2
	v_cndmask_b32_e64 v8, 0, 1, vcc_lo
	v_cmp_ne_u32_e32 vcc_lo, v6, v11
	v_lshl_or_b32 v11, v9, 12, v4
	v_or_b32_e32 v8, v12, v8
	v_cndmask_b32_e64 v6, 0, 1, vcc_lo
	v_cmp_gt_i32_e32 vcc_lo, 1, v7
	v_or_b32_e32 v6, v13, v6
	v_cndmask_b32_e32 v8, v10, v8, vcc_lo
	v_cmp_gt_i32_e32 vcc_lo, 1, v9
	v_and_b32_e32 v10, 7, v8
	v_cndmask_b32_e32 v6, v11, v6, vcc_lo
	v_cmp_ne_u32_e32 vcc_lo, 0, v2
	v_lshrrev_b32_e32 v8, 2, v8
	v_cmp_eq_u32_e64 s0, 3, v10
	v_and_b32_e32 v11, 7, v6
	v_cndmask_b32_e64 v2, 0, 1, vcc_lo
	v_cmp_ne_u32_e32 vcc_lo, 0, v4
	v_lshrrev_b32_e32 v6, 2, v6
	v_cmp_lt_i32_e64 s1, 5, v11
	v_cmp_eq_u32_e64 s2, 3, v11
	v_cndmask_b32_e64 v4, 0, 1, vcc_lo
	v_cmp_lt_i32_e32 vcc_lo, 5, v10
	v_lshl_or_b32 v2, v2, 9, 0x7c00
	v_lshl_or_b32 v4, v4, 9, 0x7c00
	s_or_b32 vcc_lo, s0, vcc_lo
	v_add_co_ci_u32_e32 v8, vcc_lo, 0, v8, vcc_lo
	s_or_b32 vcc_lo, s2, s1
	v_add_co_ci_u32_e32 v6, vcc_lo, 0, v6, vcc_lo
	v_cmp_gt_i32_e32 vcc_lo, 31, v7
	v_cndmask_b32_e32 v8, 0x7c00, v8, vcc_lo
	v_cmp_gt_i32_e32 vcc_lo, 31, v9
	v_cndmask_b32_e32 v6, 0x7c00, v6, vcc_lo
	v_cmp_eq_u32_e32 vcc_lo, 0x40f, v7
	v_cndmask_b32_e32 v2, v8, v2, vcc_lo
	v_cmp_eq_u32_e32 vcc_lo, 0x40f, v9
	v_and_or_b32 v2, 0x8000, v3, v2
	v_cndmask_b32_e32 v4, v6, v4, vcc_lo
	v_add_co_u32 v0, vcc_lo, v0, s6
	v_add_co_ci_u32_e32 v1, vcc_lo, s7, v1, vcc_lo
	v_and_or_b32 v3, 0x8000, v5, v4
	v_and_b32_e32 v2, 0xffff, v2
	v_lshl_or_b32 v2, v3, 16, v2
	global_store_dword v[0:1], v2, off
	global_load_dword v4, v[31:32], off offset:1732
	v_add_nc_u32_e32 v2, 0xec0, v71
	ds_read2_b32 v[2:3], v2 offset0:1 offset1:241
	s_waitcnt lgkmcnt(0)
	v_lshrrev_b32_e32 v5, 16, v2
	s_waitcnt vmcnt(0)
	v_mul_f16_sdwa v6, v5, v4 dst_sel:DWORD dst_unused:UNUSED_PAD src0_sel:DWORD src1_sel:WORD_1
	v_mul_f16_sdwa v7, v2, v4 dst_sel:DWORD dst_unused:UNUSED_PAD src0_sel:DWORD src1_sel:WORD_1
	v_fmac_f16_e32 v6, v2, v4
	v_fma_f16 v2, v4, v5, -v7
	v_cvt_f32_f16_e32 v4, v6
	v_cvt_f32_f16_e32 v2, v2
	v_cvt_f64_f32_e32 v[4:5], v4
	v_cvt_f64_f32_e32 v[6:7], v2
	v_mul_f64 v[4:5], v[4:5], s[4:5]
	v_mul_f64 v[6:7], v[6:7], s[4:5]
	v_and_or_b32 v2, 0x1ff, v5, v4
	v_and_or_b32 v6, 0x1ff, v7, v6
	v_lshrrev_b32_e32 v4, 8, v5
	v_bfe_u32 v8, v5, 20, 11
	v_lshrrev_b32_e32 v9, 8, v7
	v_cmp_ne_u32_e32 vcc_lo, 0, v2
	v_bfe_u32 v10, v7, 20, 11
	v_lshrrev_b32_e32 v5, 16, v5
	v_sub_nc_u32_e32 v11, 0x3f1, v8
	v_add_nc_u32_e32 v8, 0xfffffc10, v8
	v_cndmask_b32_e64 v2, 0, 1, vcc_lo
	v_cmp_ne_u32_e32 vcc_lo, 0, v6
	v_lshrrev_b32_e32 v7, 16, v7
	v_and_or_b32 v2, 0xffe, v4, v2
	v_cndmask_b32_e64 v6, 0, 1, vcc_lo
	v_sub_nc_u32_e32 v4, 0x3f1, v10
	v_add_nc_u32_e32 v10, 0xfffffc10, v10
	v_and_or_b32 v6, 0xffe, v9, v6
	v_med3_i32 v9, v11, 0, 13
	v_or_b32_e32 v11, 0x1000, v2
	v_med3_i32 v4, v4, 0, 13
	v_or_b32_e32 v12, 0x1000, v6
	v_lshrrev_b32_e32 v13, v9, v11
	v_lshrrev_b32_e32 v14, v4, v12
	v_lshlrev_b32_e32 v9, v9, v13
	v_lshlrev_b32_e32 v4, v4, v14
	v_cmp_ne_u32_e32 vcc_lo, v9, v11
	v_lshl_or_b32 v11, v8, 12, v2
	v_cndmask_b32_e64 v9, 0, 1, vcc_lo
	v_cmp_ne_u32_e32 vcc_lo, v4, v12
	v_lshl_or_b32 v12, v10, 12, v6
	v_or_b32_e32 v9, v13, v9
	v_cndmask_b32_e64 v4, 0, 1, vcc_lo
	v_cmp_gt_i32_e32 vcc_lo, 1, v8
	v_or_b32_e32 v4, v14, v4
	v_cndmask_b32_e32 v9, v11, v9, vcc_lo
	v_cmp_gt_i32_e32 vcc_lo, 1, v10
	v_and_b32_e32 v11, 7, v9
	v_cndmask_b32_e32 v4, v12, v4, vcc_lo
	v_cmp_ne_u32_e32 vcc_lo, 0, v2
	v_lshrrev_b32_e32 v9, 2, v9
	v_cmp_eq_u32_e64 s0, 3, v11
	v_and_b32_e32 v12, 7, v4
	v_cndmask_b32_e64 v2, 0, 1, vcc_lo
	v_cmp_ne_u32_e32 vcc_lo, 0, v6
	v_lshrrev_b32_e32 v4, 2, v4
	v_cmp_lt_i32_e64 s1, 5, v12
	v_cmp_eq_u32_e64 s2, 3, v12
	v_cndmask_b32_e64 v6, 0, 1, vcc_lo
	v_cmp_lt_i32_e32 vcc_lo, 5, v11
	v_lshl_or_b32 v2, v2, 9, 0x7c00
	v_lshl_or_b32 v6, v6, 9, 0x7c00
	s_or_b32 vcc_lo, s0, vcc_lo
	v_add_co_ci_u32_e32 v9, vcc_lo, 0, v9, vcc_lo
	s_or_b32 vcc_lo, s2, s1
	v_add_co_ci_u32_e32 v4, vcc_lo, 0, v4, vcc_lo
	v_cmp_gt_i32_e32 vcc_lo, 31, v8
	v_cndmask_b32_e32 v9, 0x7c00, v9, vcc_lo
	v_cmp_gt_i32_e32 vcc_lo, 31, v10
	v_cndmask_b32_e32 v4, 0x7c00, v4, vcc_lo
	v_cmp_eq_u32_e32 vcc_lo, 0x40f, v8
	v_cndmask_b32_e32 v2, v9, v2, vcc_lo
	v_cmp_eq_u32_e32 vcc_lo, 0x40f, v10
	v_and_or_b32 v2, 0x8000, v5, v2
	v_cndmask_b32_e32 v4, v4, v6, vcc_lo
	v_add_co_u32 v0, vcc_lo, v0, s6
	v_add_co_ci_u32_e32 v1, vcc_lo, s7, v1, vcc_lo
	v_and_or_b32 v4, 0x8000, v7, v4
	v_and_b32_e32 v2, 0xffff, v2
	v_lshl_or_b32 v2, v4, 16, v2
	v_lshrrev_b32_e32 v4, 16, v3
	global_store_dword v[0:1], v2, off
	global_load_dword v2, v[33:34], off offset:644
	s_waitcnt vmcnt(0)
	v_mul_f16_sdwa v5, v4, v2 dst_sel:DWORD dst_unused:UNUSED_PAD src0_sel:DWORD src1_sel:WORD_1
	v_mul_f16_sdwa v6, v3, v2 dst_sel:DWORD dst_unused:UNUSED_PAD src0_sel:DWORD src1_sel:WORD_1
	v_fmac_f16_e32 v5, v3, v2
	v_fma_f16 v2, v2, v4, -v6
	v_cvt_f32_f16_e32 v3, v5
	v_cvt_f32_f16_e32 v4, v2
	v_cvt_f64_f32_e32 v[2:3], v3
	v_cvt_f64_f32_e32 v[4:5], v4
	v_mul_f64 v[2:3], v[2:3], s[4:5]
	v_mul_f64 v[4:5], v[4:5], s[4:5]
	v_and_or_b32 v2, 0x1ff, v3, v2
	v_and_or_b32 v4, 0x1ff, v5, v4
	v_lshrrev_b32_e32 v6, 8, v3
	v_bfe_u32 v7, v3, 20, 11
	v_lshrrev_b32_e32 v8, 8, v5
	v_cmp_ne_u32_e32 vcc_lo, 0, v2
	v_bfe_u32 v9, v5, 20, 11
	v_lshrrev_b32_e32 v3, 16, v3
	v_sub_nc_u32_e32 v10, 0x3f1, v7
	v_add_nc_u32_e32 v7, 0xfffffc10, v7
	v_cndmask_b32_e64 v2, 0, 1, vcc_lo
	v_cmp_ne_u32_e32 vcc_lo, 0, v4
	v_lshrrev_b32_e32 v5, 16, v5
	v_and_or_b32 v2, 0xffe, v6, v2
	v_cndmask_b32_e64 v4, 0, 1, vcc_lo
	v_sub_nc_u32_e32 v6, 0x3f1, v9
	v_add_nc_u32_e32 v9, 0xfffffc10, v9
	v_and_or_b32 v4, 0xffe, v8, v4
	v_med3_i32 v8, v10, 0, 13
	v_or_b32_e32 v10, 0x1000, v2
	v_med3_i32 v6, v6, 0, 13
	v_or_b32_e32 v11, 0x1000, v4
	v_lshrrev_b32_e32 v12, v8, v10
	v_lshrrev_b32_e32 v13, v6, v11
	v_lshlrev_b32_e32 v8, v8, v12
	v_lshlrev_b32_e32 v6, v6, v13
	v_cmp_ne_u32_e32 vcc_lo, v8, v10
	v_lshl_or_b32 v10, v7, 12, v2
	v_cndmask_b32_e64 v8, 0, 1, vcc_lo
	v_cmp_ne_u32_e32 vcc_lo, v6, v11
	v_lshl_or_b32 v11, v9, 12, v4
	v_or_b32_e32 v8, v12, v8
	v_cndmask_b32_e64 v6, 0, 1, vcc_lo
	v_cmp_gt_i32_e32 vcc_lo, 1, v7
	v_or_b32_e32 v6, v13, v6
	v_cndmask_b32_e32 v8, v10, v8, vcc_lo
	v_cmp_gt_i32_e32 vcc_lo, 1, v9
	v_and_b32_e32 v10, 7, v8
	v_cndmask_b32_e32 v6, v11, v6, vcc_lo
	v_cmp_ne_u32_e32 vcc_lo, 0, v2
	v_lshrrev_b32_e32 v8, 2, v8
	v_cmp_eq_u32_e64 s0, 3, v10
	v_and_b32_e32 v11, 7, v6
	v_cndmask_b32_e64 v2, 0, 1, vcc_lo
	v_cmp_ne_u32_e32 vcc_lo, 0, v4
	v_lshrrev_b32_e32 v6, 2, v6
	v_cmp_lt_i32_e64 s1, 5, v11
	v_cmp_eq_u32_e64 s2, 3, v11
	v_cndmask_b32_e64 v4, 0, 1, vcc_lo
	v_cmp_lt_i32_e32 vcc_lo, 5, v10
	v_lshl_or_b32 v2, v2, 9, 0x7c00
	v_lshl_or_b32 v4, v4, 9, 0x7c00
	s_or_b32 vcc_lo, s0, vcc_lo
	v_add_co_ci_u32_e32 v8, vcc_lo, 0, v8, vcc_lo
	s_or_b32 vcc_lo, s2, s1
	v_add_co_ci_u32_e32 v6, vcc_lo, 0, v6, vcc_lo
	v_cmp_gt_i32_e32 vcc_lo, 31, v7
	v_cndmask_b32_e32 v8, 0x7c00, v8, vcc_lo
	v_cmp_gt_i32_e32 vcc_lo, 31, v9
	v_cndmask_b32_e32 v6, 0x7c00, v6, vcc_lo
	v_cmp_eq_u32_e32 vcc_lo, 0x40f, v7
	v_cndmask_b32_e32 v2, v8, v2, vcc_lo
	v_cmp_eq_u32_e32 vcc_lo, 0x40f, v9
	v_and_or_b32 v2, 0x8000, v3, v2
	v_cndmask_b32_e32 v4, v6, v4, vcc_lo
	v_add_co_u32 v0, vcc_lo, v0, s6
	v_add_co_ci_u32_e32 v1, vcc_lo, s7, v1, vcc_lo
	v_and_or_b32 v3, 0x8000, v5, v4
	v_and_b32_e32 v2, 0xffff, v2
	v_lshl_or_b32 v2, v3, 16, v2
	global_store_dword v[0:1], v2, off
.LBB0_31:
	s_endpgm
	.section	.rodata,"a",@progbits
	.p2align	6, 0x0
	.amdhsa_kernel bluestein_single_fwd_len1200_dim1_half_op_CI_CI
		.amdhsa_group_segment_fixed_size 14400
		.amdhsa_private_segment_fixed_size 0
		.amdhsa_kernarg_size 104
		.amdhsa_user_sgpr_count 6
		.amdhsa_user_sgpr_private_segment_buffer 1
		.amdhsa_user_sgpr_dispatch_ptr 0
		.amdhsa_user_sgpr_queue_ptr 0
		.amdhsa_user_sgpr_kernarg_segment_ptr 1
		.amdhsa_user_sgpr_dispatch_id 0
		.amdhsa_user_sgpr_flat_scratch_init 0
		.amdhsa_user_sgpr_private_segment_size 0
		.amdhsa_wavefront_size32 1
		.amdhsa_uses_dynamic_stack 0
		.amdhsa_system_sgpr_private_segment_wavefront_offset 0
		.amdhsa_system_sgpr_workgroup_id_x 1
		.amdhsa_system_sgpr_workgroup_id_y 0
		.amdhsa_system_sgpr_workgroup_id_z 0
		.amdhsa_system_sgpr_workgroup_info 0
		.amdhsa_system_vgpr_workitem_id 0
		.amdhsa_next_free_vgpr 167
		.amdhsa_next_free_sgpr 16
		.amdhsa_reserve_vcc 1
		.amdhsa_reserve_flat_scratch 0
		.amdhsa_float_round_mode_32 0
		.amdhsa_float_round_mode_16_64 0
		.amdhsa_float_denorm_mode_32 3
		.amdhsa_float_denorm_mode_16_64 3
		.amdhsa_dx10_clamp 1
		.amdhsa_ieee_mode 1
		.amdhsa_fp16_overflow 0
		.amdhsa_workgroup_processor_mode 1
		.amdhsa_memory_ordered 1
		.amdhsa_forward_progress 0
		.amdhsa_shared_vgpr_count 0
		.amdhsa_exception_fp_ieee_invalid_op 0
		.amdhsa_exception_fp_denorm_src 0
		.amdhsa_exception_fp_ieee_div_zero 0
		.amdhsa_exception_fp_ieee_overflow 0
		.amdhsa_exception_fp_ieee_underflow 0
		.amdhsa_exception_fp_ieee_inexact 0
		.amdhsa_exception_int_div_zero 0
	.end_amdhsa_kernel
	.text
.Lfunc_end0:
	.size	bluestein_single_fwd_len1200_dim1_half_op_CI_CI, .Lfunc_end0-bluestein_single_fwd_len1200_dim1_half_op_CI_CI
                                        ; -- End function
	.section	.AMDGPU.csdata,"",@progbits
; Kernel info:
; codeLenInByte = 31012
; NumSgprs: 18
; NumVgprs: 167
; ScratchSize: 0
; MemoryBound: 0
; FloatMode: 240
; IeeeMode: 1
; LDSByteSize: 14400 bytes/workgroup (compile time only)
; SGPRBlocks: 2
; VGPRBlocks: 20
; NumSGPRsForWavesPerEU: 18
; NumVGPRsForWavesPerEU: 167
; Occupancy: 5
; WaveLimiterHint : 1
; COMPUTE_PGM_RSRC2:SCRATCH_EN: 0
; COMPUTE_PGM_RSRC2:USER_SGPR: 6
; COMPUTE_PGM_RSRC2:TRAP_HANDLER: 0
; COMPUTE_PGM_RSRC2:TGID_X_EN: 1
; COMPUTE_PGM_RSRC2:TGID_Y_EN: 0
; COMPUTE_PGM_RSRC2:TGID_Z_EN: 0
; COMPUTE_PGM_RSRC2:TIDIG_COMP_CNT: 0
	.text
	.p2alignl 6, 3214868480
	.fill 48, 4, 3214868480
	.type	__hip_cuid_f6a5a548a8d02b29,@object ; @__hip_cuid_f6a5a548a8d02b29
	.section	.bss,"aw",@nobits
	.globl	__hip_cuid_f6a5a548a8d02b29
__hip_cuid_f6a5a548a8d02b29:
	.byte	0                               ; 0x0
	.size	__hip_cuid_f6a5a548a8d02b29, 1

	.ident	"AMD clang version 19.0.0git (https://github.com/RadeonOpenCompute/llvm-project roc-6.4.0 25133 c7fe45cf4b819c5991fe208aaa96edf142730f1d)"
	.section	".note.GNU-stack","",@progbits
	.addrsig
	.addrsig_sym __hip_cuid_f6a5a548a8d02b29
	.amdgpu_metadata
---
amdhsa.kernels:
  - .args:
      - .actual_access:  read_only
        .address_space:  global
        .offset:         0
        .size:           8
        .value_kind:     global_buffer
      - .actual_access:  read_only
        .address_space:  global
        .offset:         8
        .size:           8
        .value_kind:     global_buffer
      - .actual_access:  read_only
        .address_space:  global
        .offset:         16
        .size:           8
        .value_kind:     global_buffer
      - .actual_access:  read_only
        .address_space:  global
        .offset:         24
        .size:           8
        .value_kind:     global_buffer
      - .actual_access:  read_only
        .address_space:  global
        .offset:         32
        .size:           8
        .value_kind:     global_buffer
      - .offset:         40
        .size:           8
        .value_kind:     by_value
      - .address_space:  global
        .offset:         48
        .size:           8
        .value_kind:     global_buffer
      - .address_space:  global
        .offset:         56
        .size:           8
        .value_kind:     global_buffer
      - .address_space:  global
        .offset:         64
        .size:           8
        .value_kind:     global_buffer
      - .address_space:  global
        .offset:         72
        .size:           8
        .value_kind:     global_buffer
      - .offset:         80
        .size:           4
        .value_kind:     by_value
      - .address_space:  global
        .offset:         88
        .size:           8
        .value_kind:     global_buffer
      - .address_space:  global
        .offset:         96
        .size:           8
        .value_kind:     global_buffer
    .group_segment_fixed_size: 14400
    .kernarg_segment_align: 8
    .kernarg_segment_size: 104
    .language:       OpenCL C
    .language_version:
      - 2
      - 0
    .max_flat_workgroup_size: 225
    .name:           bluestein_single_fwd_len1200_dim1_half_op_CI_CI
    .private_segment_fixed_size: 0
    .sgpr_count:     18
    .sgpr_spill_count: 0
    .symbol:         bluestein_single_fwd_len1200_dim1_half_op_CI_CI.kd
    .uniform_work_group_size: 1
    .uses_dynamic_stack: false
    .vgpr_count:     167
    .vgpr_spill_count: 0
    .wavefront_size: 32
    .workgroup_processor_mode: 1
amdhsa.target:   amdgcn-amd-amdhsa--gfx1030
amdhsa.version:
  - 1
  - 2
...

	.end_amdgpu_metadata
